;; amdgpu-corpus repo=ROCm/rocFFT kind=compiled arch=gfx906 opt=O3
	.text
	.amdgcn_target "amdgcn-amd-amdhsa--gfx906"
	.amdhsa_code_object_version 6
	.protected	bluestein_single_back_len1092_dim1_half_op_CI_CI ; -- Begin function bluestein_single_back_len1092_dim1_half_op_CI_CI
	.globl	bluestein_single_back_len1092_dim1_half_op_CI_CI
	.p2align	8
	.type	bluestein_single_back_len1092_dim1_half_op_CI_CI,@function
bluestein_single_back_len1092_dim1_half_op_CI_CI: ; @bluestein_single_back_len1092_dim1_half_op_CI_CI
; %bb.0:
	s_load_dwordx4 s[12:15], s[4:5], 0x28
	v_mul_u32_u24_e32 v1, 0x4ed, v0
	v_add_u32_sdwa v22, s6, v1 dst_sel:DWORD dst_unused:UNUSED_PAD src0_sel:DWORD src1_sel:WORD_1
	v_mov_b32_e32 v23, 0
	s_waitcnt lgkmcnt(0)
	v_cmp_gt_u64_e32 vcc, s[12:13], v[22:23]
	s_and_saveexec_b64 s[0:1], vcc
	s_cbranch_execz .LBB0_31
; %bb.1:
	s_load_dwordx4 s[0:3], s[4:5], 0x18
	s_load_dwordx2 s[16:17], s[4:5], 0x0
	v_mov_b32_e32 v2, 52
	v_mul_lo_u16_sdwa v1, v1, v2 dst_sel:DWORD dst_unused:UNUSED_PAD src0_sel:WORD_1 src1_sel:DWORD
	v_sub_u16_e32 v86, v0, v1
	s_waitcnt lgkmcnt(0)
	s_load_dwordx4 s[8:11], s[0:1], 0x0
	v_lshlrev_b32_e32 v67, 2, v86
	global_load_dword v88, v67, s[16:17]
	v_mov_b32_e32 v10, s17
	v_add_co_u32_e64 v20, s[6:7], s16, v67
	s_waitcnt lgkmcnt(0)
	v_mad_u64_u32 v[0:1], s[0:1], s10, v22, 0
	v_mad_u64_u32 v[2:3], s[0:1], s8, v86, 0
	v_add_u32_e32 v18, 0xc00, v67
	v_add_u32_e32 v19, 0x400, v67
	v_mad_u64_u32 v[4:5], s[0:1], s11, v22, v[1:2]
	v_mad_u64_u32 v[5:6], s[0:1], s9, v86, v[3:4]
	v_mov_b32_e32 v1, v4
	v_lshlrev_b64 v[0:1], 2, v[0:1]
	v_mov_b32_e32 v6, s15
	v_mov_b32_e32 v3, v5
	v_add_co_u32_e32 v4, vcc, s14, v0
	v_addc_co_u32_e32 v5, vcc, v6, v1, vcc
	v_lshlrev_b64 v[0:1], 2, v[2:3]
	s_mul_i32 s0, s9, 0x222
	s_mul_hi_u32 s1, s8, 0x222
	v_add_co_u32_e32 v0, vcc, v4, v0
	s_add_i32 s1, s1, s0
	s_mul_i32 s0, s8, 0x222
	v_addc_co_u32_e32 v1, vcc, v5, v1, vcc
	s_lshl_b64 s[14:15], s[0:1], 2
	s_mul_hi_u32 s1, s8, 0xfffffe12
	v_mov_b32_e32 v4, s15
	v_add_co_u32_e32 v2, vcc, s14, v0
	s_mul_i32 s0, s9, 0xfffffe12
	s_sub_i32 s1, s1, s8
	v_addc_co_u32_e32 v3, vcc, v1, v4, vcc
	global_load_dword v5, v[0:1], off
	global_load_dword v6, v[2:3], off
	global_load_dword v87, v67, s[16:17] offset:2184
	s_add_i32 s1, s1, s0
	s_mul_i32 s0, s8, 0xfffffe12
	s_lshl_b64 s[18:19], s[0:1], 2
	v_mov_b32_e32 v7, s19
	v_add_co_u32_e32 v0, vcc, s18, v2
	v_addc_co_u32_e32 v1, vcc, v3, v7, vcc
	global_load_dword v2, v[0:1], off
	global_load_dword v85, v67, s[16:17] offset:208
	v_add_co_u32_e32 v0, vcc, s14, v0
	v_addc_co_u32_e32 v1, vcc, v1, v4, vcc
	global_load_dword v3, v[0:1], off
	global_load_dword v84, v67, s[16:17] offset:2392
	;; [unrolled: 4-line block ×4, first 2 shown]
	v_add_co_u32_e32 v0, vcc, s18, v0
	v_addc_co_u32_e32 v1, vcc, v1, v7, vcc
	s_load_dwordx2 s[12:13], s[4:5], 0x38
	s_load_dwordx4 s[8:11], s[2:3], 0x0
	global_load_dword v80, v67, s[16:17] offset:2808
	global_load_dword v78, v67, s[16:17] offset:3016
	;; [unrolled: 1-line block ×3, first 2 shown]
	global_load_dword v11, v[0:1], off
	global_load_dword v81, v67, s[16:17] offset:624
	global_load_dword v79, v67, s[16:17] offset:832
	;; [unrolled: 1-line block ×7, first 2 shown]
	v_addc_co_u32_e64 v21, vcc, 0, v10, s[6:7]
	v_add_co_u32_e32 v0, vcc, s14, v0
	v_addc_co_u32_e32 v1, vcc, v1, v4, vcc
	v_cmp_gt_u16_e64 s[0:1], 26, v86
	s_waitcnt vmcnt(21)
	v_lshrrev_b32_e32 v10, 16, v5
	v_mul_f16_sdwa v12, v88, v5 dst_sel:DWORD dst_unused:UNUSED_PAD src0_sel:WORD_1 src1_sel:DWORD
	v_mul_f16_sdwa v13, v88, v10 dst_sel:DWORD dst_unused:UNUSED_PAD src0_sel:WORD_1 src1_sel:DWORD
	v_fma_f16 v10, v88, v10, -v12
	s_waitcnt vmcnt(20)
	v_lshrrev_b32_e32 v12, 16, v6
	s_waitcnt vmcnt(19)
	v_mul_f16_sdwa v14, v87, v6 dst_sel:DWORD dst_unused:UNUSED_PAD src0_sel:WORD_1 src1_sel:DWORD
	v_fma_f16 v5, v88, v5, v13
	v_mul_f16_sdwa v13, v87, v12 dst_sel:DWORD dst_unused:UNUSED_PAD src0_sel:WORD_1 src1_sel:DWORD
	v_fma_f16 v12, v87, v12, -v14
	v_fma_f16 v6, v87, v6, v13
	v_pack_b32_f16 v6, v6, v12
	ds_write_b32 v67, v6 offset:2184
	s_waitcnt vmcnt(18)
	v_lshrrev_b32_e32 v6, 16, v2
	v_pack_b32_f16 v5, v5, v10
	s_waitcnt vmcnt(17)
	v_mul_f16_sdwa v10, v85, v6 dst_sel:DWORD dst_unused:UNUSED_PAD src0_sel:WORD_1 src1_sel:DWORD
	v_fma_f16 v10, v85, v2, v10
	v_mul_f16_sdwa v2, v85, v2 dst_sel:DWORD dst_unused:UNUSED_PAD src0_sel:WORD_1 src1_sel:DWORD
	v_fma_f16 v2, v85, v6, -v2
	v_pack_b32_f16 v2, v10, v2
	ds_write2_b32 v67, v5, v2 offset1:52
	s_waitcnt vmcnt(16)
	v_lshrrev_b32_e32 v2, 16, v3
	s_waitcnt vmcnt(15)
	v_mul_f16_sdwa v6, v84, v2 dst_sel:DWORD dst_unused:UNUSED_PAD src0_sel:WORD_1 src1_sel:DWORD
	v_fma_f16 v6, v84, v3, v6
	v_mul_f16_sdwa v3, v84, v3 dst_sel:DWORD dst_unused:UNUSED_PAD src0_sel:WORD_1 src1_sel:DWORD
	v_fma_f16 v2, v84, v2, -v3
	global_load_dword v5, v[0:1], off
	v_pack_b32_f16 v3, v6, v2
	s_waitcnt vmcnt(15)
	v_lshrrev_b32_e32 v2, 16, v8
	s_waitcnt vmcnt(14)
	v_mul_f16_sdwa v6, v83, v2 dst_sel:DWORD dst_unused:UNUSED_PAD src0_sel:WORD_1 src1_sel:DWORD
	v_add_co_u32_e32 v0, vcc, s18, v0
	v_fma_f16 v6, v83, v8, v6
	v_mul_f16_sdwa v8, v83, v8 dst_sel:DWORD dst_unused:UNUSED_PAD src0_sel:WORD_1 src1_sel:DWORD
	v_addc_co_u32_e32 v1, vcc, v1, v7, vcc
	v_fma_f16 v2, v83, v2, -v8
	global_load_dword v8, v[0:1], off
	v_add_co_u32_e32 v0, vcc, s14, v0
	v_addc_co_u32_e32 v1, vcc, v1, v4, vcc
	global_load_dword v12, v[0:1], off
	v_add_co_u32_e32 v0, vcc, s18, v0
	v_addc_co_u32_e32 v1, vcc, v1, v7, vcc
	v_pack_b32_f16 v6, v6, v2
	s_waitcnt vmcnt(15)
	v_lshrrev_b32_e32 v2, 16, v9
	global_load_dword v13, v[0:1], off
	s_waitcnt vmcnt(15)
	v_mul_f16_sdwa v10, v82, v2 dst_sel:DWORD dst_unused:UNUSED_PAD src0_sel:WORD_1 src1_sel:DWORD
	v_fma_f16 v10, v82, v9, v10
	v_mul_f16_sdwa v9, v82, v9 dst_sel:DWORD dst_unused:UNUSED_PAD src0_sel:WORD_1 src1_sel:DWORD
	v_add_co_u32_e32 v0, vcc, s14, v0
	v_fma_f16 v2, v82, v2, -v9
	v_addc_co_u32_e32 v1, vcc, v1, v4, vcc
	v_pack_b32_f16 v9, v10, v2
	global_load_dword v10, v[0:1], off
	v_add_co_u32_e32 v0, vcc, s18, v0
	v_add_u32_e32 v2, 0x800, v67
	v_addc_co_u32_e32 v1, vcc, v1, v7, vcc
	ds_write2_b32 v2, v3, v9 offset0:86 offset1:138
	global_load_dword v9, v[0:1], off
	v_add_co_u32_e32 v0, vcc, s14, v0
	v_addc_co_u32_e32 v1, vcc, v1, v4, vcc
	global_load_dword v14, v[0:1], off
	global_load_dword v75, v67, s[16:17] offset:3432
	v_add_co_u32_e32 v0, vcc, s18, v0
	v_addc_co_u32_e32 v1, vcc, v1, v7, vcc
	global_load_dword v16, v[0:1], off
	s_waitcnt vmcnt(16)
	v_lshrrev_b32_e32 v3, 16, v11
	s_waitcnt vmcnt(15)
	v_mul_f16_sdwa v15, v81, v3 dst_sel:DWORD dst_unused:UNUSED_PAD src0_sel:WORD_1 src1_sel:DWORD
	v_add_co_u32_e32 v0, vcc, s14, v0
	v_fma_f16 v15, v81, v11, v15
	v_mul_f16_sdwa v11, v81, v11 dst_sel:DWORD dst_unused:UNUSED_PAD src0_sel:WORD_1 src1_sel:DWORD
	v_addc_co_u32_e32 v1, vcc, v1, v4, vcc
	v_fma_f16 v3, v81, v3, -v11
	global_load_dword v11, v[0:1], off
	global_load_dword v73, v67, s[16:17] offset:3640
	v_add_co_u32_e32 v0, vcc, s18, v0
	v_addc_co_u32_e32 v1, vcc, v1, v7, vcc
	v_pack_b32_f16 v3, v15, v3
	global_load_dword v15, v[0:1], off
	v_add_co_u32_e32 v0, vcc, s14, v0
	ds_write2_b32 v67, v6, v3 offset0:104 offset1:156
	v_addc_co_u32_e32 v1, vcc, v1, v4, vcc
	global_load_dword v6, v[0:1], off
	global_load_dword v70, v67, s[16:17] offset:3848
	v_add_co_u32_e32 v0, vcc, s18, v0
	v_addc_co_u32_e32 v1, vcc, v1, v7, vcc
	global_load_dword v7, v[0:1], off
	v_add_co_u32_e32 v0, vcc, s14, v0
	v_addc_co_u32_e32 v1, vcc, v1, v4, vcc
	global_load_dword v4, v[0:1], off
	global_load_dword v68, v67, s[16:17] offset:4056
	s_waitcnt vmcnt(16)
	v_lshrrev_b32_e32 v3, 16, v5
	v_mul_f16_sdwa v17, v80, v3 dst_sel:DWORD dst_unused:UNUSED_PAD src0_sel:WORD_1 src1_sel:DWORD
	v_fma_f16 v17, v80, v5, v17
	v_mul_f16_sdwa v5, v80, v5 dst_sel:DWORD dst_unused:UNUSED_PAD src0_sel:WORD_1 src1_sel:DWORD
	v_fma_f16 v3, v80, v3, -v5
	v_pack_b32_f16 v3, v17, v3
	s_waitcnt vmcnt(15)
	v_lshrrev_b32_e32 v5, 16, v8
	v_mul_f16_sdwa v17, v79, v5 dst_sel:DWORD dst_unused:UNUSED_PAD src0_sel:WORD_1 src1_sel:DWORD
	v_fma_f16 v17, v79, v8, v17
	v_mul_f16_sdwa v8, v79, v8 dst_sel:DWORD dst_unused:UNUSED_PAD src0_sel:WORD_1 src1_sel:DWORD
	v_fma_f16 v5, v79, v5, -v8
	s_waitcnt vmcnt(14)
	v_lshrrev_b32_e32 v8, 16, v12
	v_pack_b32_f16 v5, v17, v5
	v_mul_f16_sdwa v17, v78, v8 dst_sel:DWORD dst_unused:UNUSED_PAD src0_sel:WORD_1 src1_sel:DWORD
	v_fma_f16 v17, v78, v12, v17
	v_mul_f16_sdwa v12, v78, v12 dst_sel:DWORD dst_unused:UNUSED_PAD src0_sel:WORD_1 src1_sel:DWORD
	v_fma_f16 v8, v78, v8, -v12
	v_pack_b32_f16 v8, v17, v8
	ds_write2_b32 v2, v3, v8 offset0:190 offset1:242
	s_waitcnt vmcnt(13)
	v_lshrrev_b32_e32 v3, 16, v13
	v_mul_f16_sdwa v8, v77, v3 dst_sel:DWORD dst_unused:UNUSED_PAD src0_sel:WORD_1 src1_sel:DWORD
	v_mul_f16_sdwa v12, v77, v13 dst_sel:DWORD dst_unused:UNUSED_PAD src0_sel:WORD_1 src1_sel:DWORD
	v_fma_f16 v8, v77, v13, v8
	v_fma_f16 v3, v77, v3, -v12
	v_pack_b32_f16 v8, v8, v3
	v_add_u32_e32 v3, 0x200, v67
	ds_write2_b32 v3, v5, v8 offset0:80 offset1:132
	s_waitcnt vmcnt(12)
	v_lshrrev_b32_e32 v5, 16, v10
	v_mul_f16_sdwa v8, v76, v5 dst_sel:DWORD dst_unused:UNUSED_PAD src0_sel:WORD_1 src1_sel:DWORD
	v_fma_f16 v8, v76, v10, v8
	v_mul_f16_sdwa v10, v76, v10 dst_sel:DWORD dst_unused:UNUSED_PAD src0_sel:WORD_1 src1_sel:DWORD
	v_fma_f16 v5, v76, v5, -v10
	v_pack_b32_f16 v5, v8, v5
	s_waitcnt vmcnt(11)
	v_lshrrev_b32_e32 v8, 16, v9
	v_mul_f16_sdwa v10, v74, v8 dst_sel:DWORD dst_unused:UNUSED_PAD src0_sel:WORD_1 src1_sel:DWORD
	v_fma_f16 v10, v74, v9, v10
	v_mul_f16_sdwa v9, v74, v9 dst_sel:DWORD dst_unused:UNUSED_PAD src0_sel:WORD_1 src1_sel:DWORD
	v_fma_f16 v8, v74, v8, -v9
	s_waitcnt vmcnt(10)
	v_lshrrev_b32_e32 v9, 16, v14
	v_pack_b32_f16 v8, v10, v8
	s_waitcnt vmcnt(9)
	v_mul_f16_sdwa v10, v75, v9 dst_sel:DWORD dst_unused:UNUSED_PAD src0_sel:WORD_1 src1_sel:DWORD
	v_mul_f16_sdwa v12, v75, v14 dst_sel:DWORD dst_unused:UNUSED_PAD src0_sel:WORD_1 src1_sel:DWORD
	v_fma_f16 v10, v75, v14, v10
	v_fma_f16 v9, v75, v9, -v12
	v_pack_b32_f16 v9, v10, v9
	ds_write2_b32 v18, v5, v9 offset0:38 offset1:90
	s_waitcnt vmcnt(8)
	v_lshrrev_b32_e32 v5, 16, v16
	v_mul_f16_sdwa v9, v72, v5 dst_sel:DWORD dst_unused:UNUSED_PAD src0_sel:WORD_1 src1_sel:DWORD
	v_mul_f16_sdwa v10, v72, v16 dst_sel:DWORD dst_unused:UNUSED_PAD src0_sel:WORD_1 src1_sel:DWORD
	v_fma_f16 v9, v72, v16, v9
	v_fma_f16 v5, v72, v5, -v10
	v_pack_b32_f16 v5, v9, v5
	ds_write2_b32 v19, v8, v5 offset0:56 offset1:108
	s_waitcnt vmcnt(7)
	v_lshrrev_b32_e32 v5, 16, v11
	s_waitcnt vmcnt(6)
	v_mul_f16_sdwa v8, v73, v5 dst_sel:DWORD dst_unused:UNUSED_PAD src0_sel:WORD_1 src1_sel:DWORD
	v_mul_f16_sdwa v9, v73, v11 dst_sel:DWORD dst_unused:UNUSED_PAD src0_sel:WORD_1 src1_sel:DWORD
	v_fma_f16 v8, v73, v11, v8
	v_fma_f16 v5, v73, v5, -v9
	v_pack_b32_f16 v5, v8, v5
	s_waitcnt vmcnt(5)
	v_lshrrev_b32_e32 v8, 16, v15
	v_mul_f16_sdwa v9, v71, v8 dst_sel:DWORD dst_unused:UNUSED_PAD src0_sel:WORD_1 src1_sel:DWORD
	v_mul_f16_sdwa v10, v71, v15 dst_sel:DWORD dst_unused:UNUSED_PAD src0_sel:WORD_1 src1_sel:DWORD
	v_fma_f16 v9, v71, v15, v9
	v_fma_f16 v8, v71, v8, -v10
	v_pack_b32_f16 v8, v9, v8
	s_waitcnt vmcnt(4)
	v_lshrrev_b32_e32 v9, 16, v6
	s_waitcnt vmcnt(3)
	v_mul_f16_sdwa v10, v70, v9 dst_sel:DWORD dst_unused:UNUSED_PAD src0_sel:WORD_1 src1_sel:DWORD
	v_fma_f16 v10, v70, v6, v10
	v_mul_f16_sdwa v6, v70, v6 dst_sel:DWORD dst_unused:UNUSED_PAD src0_sel:WORD_1 src1_sel:DWORD
	v_fma_f16 v6, v70, v9, -v6
	v_pack_b32_f16 v6, v10, v6
	ds_write2_b32 v18, v5, v6 offset0:142 offset1:194
	s_waitcnt vmcnt(2)
	v_lshrrev_b32_e32 v5, 16, v7
	v_mul_f16_sdwa v6, v69, v5 dst_sel:DWORD dst_unused:UNUSED_PAD src0_sel:WORD_1 src1_sel:DWORD
	v_fma_f16 v6, v69, v7, v6
	v_mul_f16_sdwa v7, v69, v7 dst_sel:DWORD dst_unused:UNUSED_PAD src0_sel:WORD_1 src1_sel:DWORD
	v_fma_f16 v5, v69, v5, -v7
	v_pack_b32_f16 v5, v6, v5
	ds_write2_b32 v19, v8, v5 offset0:160 offset1:212
	s_waitcnt vmcnt(1)
	v_lshrrev_b32_e32 v5, 16, v4
	s_waitcnt vmcnt(0)
	v_mul_f16_sdwa v6, v68, v5 dst_sel:DWORD dst_unused:UNUSED_PAD src0_sel:WORD_1 src1_sel:DWORD
	v_fma_f16 v6, v68, v4, v6
	v_mul_f16_sdwa v4, v68, v4 dst_sel:DWORD dst_unused:UNUSED_PAD src0_sel:WORD_1 src1_sel:DWORD
	v_fma_f16 v4, v68, v5, -v4
	v_pack_b32_f16 v4, v6, v4
	ds_write_b32 v67, v4 offset:4056
	s_and_saveexec_b64 s[2:3], s[0:1]
	s_cbranch_execz .LBB0_3
; %bb.2:
	v_mov_b32_e32 v4, s19
	v_add_co_u32_e32 v0, vcc, s18, v0
	v_addc_co_u32_e32 v1, vcc, v1, v4, vcc
	global_load_dword v4, v[0:1], off
	global_load_dword v5, v[20:21], off offset:2080
	v_mov_b32_e32 v6, s15
	v_add_co_u32_e32 v0, vcc, s14, v0
	v_addc_co_u32_e32 v1, vcc, v1, v6, vcc
	global_load_dword v6, v[0:1], off
	v_add_co_u32_e32 v0, vcc, 0x1000, v20
	v_addc_co_u32_e32 v1, vcc, 0, v21, vcc
	global_load_dword v0, v[0:1], off offset:168
	s_waitcnt vmcnt(3)
	v_lshrrev_b32_e32 v1, 16, v4
	s_waitcnt vmcnt(2)
	v_mul_f16_sdwa v7, v5, v4 dst_sel:DWORD dst_unused:UNUSED_PAD src0_sel:WORD_1 src1_sel:DWORD
	v_mul_f16_sdwa v8, v5, v1 dst_sel:DWORD dst_unused:UNUSED_PAD src0_sel:WORD_1 src1_sel:DWORD
	v_fma_f16 v1, v5, v1, -v7
	v_fma_f16 v4, v5, v4, v8
	v_pack_b32_f16 v1, v4, v1
	ds_write_b32 v67, v1 offset:2080
	s_waitcnt vmcnt(1)
	v_lshrrev_b32_e32 v7, 16, v6
	s_waitcnt vmcnt(0)
	v_mul_f16_sdwa v9, v0, v6 dst_sel:DWORD dst_unused:UNUSED_PAD src0_sel:WORD_1 src1_sel:DWORD
	v_mul_f16_sdwa v5, v0, v7 dst_sel:DWORD dst_unused:UNUSED_PAD src0_sel:WORD_1 src1_sel:DWORD
	v_fma_f16 v7, v0, v7, -v9
	v_fma_f16 v0, v0, v6, v5
	v_pack_b32_f16 v0, v0, v7
	ds_write_b32 v67, v0 offset:4264
.LBB0_3:
	s_or_b64 exec, exec, s[2:3]
	s_waitcnt lgkmcnt(0)
	; wave barrier
	s_waitcnt lgkmcnt(0)
	ds_read2_b32 v[10:11], v67 offset1:52
	ds_read2_b32 v[0:1], v2 offset0:34 offset1:86
	ds_read2_b32 v[8:9], v67 offset0:104 offset1:156
	;; [unrolled: 1-line block ×4, first 2 shown]
	v_add_u32_e32 v2, 0xa00, v67
	ds_read2_b32 v[14:15], v2 offset0:114 offset1:166
	ds_read2_b32 v[4:5], v19 offset0:56 offset1:108
	;; [unrolled: 1-line block ×5, first 2 shown]
                                        ; implicit-def: $vgpr23
                                        ; implicit-def: $vgpr24
	s_and_saveexec_b64 s[2:3], s[0:1]
	s_cbranch_execz .LBB0_5
; %bb.4:
	ds_read_b32 v23, v67 offset:2080
	ds_read_b32 v24, v67 offset:4264
.LBB0_5:
	s_or_b64 exec, exec, s[2:3]
	v_add_co_u32_e32 v46, vcc, 52, v86
	v_add_co_u32_e32 v45, vcc, 0x68, v86
	s_waitcnt lgkmcnt(8)
	v_pk_add_f16 v25, v10, v0 neg_lo:[0,1] neg_hi:[0,1]
	v_pk_add_f16 v29, v11, v1 neg_lo:[0,1] neg_hi:[0,1]
	s_waitcnt lgkmcnt(6)
	v_pk_add_f16 v12, v8, v12 neg_lo:[0,1] neg_hi:[0,1]
	s_movk_i32 s2, 0xd0
	v_lshlrev_b32_e32 v27, 1, v86
	v_pk_add_f16 v13, v9, v13 neg_lo:[0,1] neg_hi:[0,1]
	s_waitcnt lgkmcnt(0)
	v_pk_add_f16 v1, v23, v24 neg_lo:[0,1] neg_hi:[0,1]
	v_lshlrev_b32_e32 v65, 3, v86
	v_pk_fma_f16 v24, v10, 2.0, v25 op_sel_hi:[1,0,1] neg_lo:[0,0,1] neg_hi:[0,0,1]
	v_lshlrev_b32_e32 v66, 3, v46
	v_pk_fma_f16 v28, v11, 2.0, v29 op_sel_hi:[1,0,1] neg_lo:[0,0,1] neg_hi:[0,0,1]
	;; [unrolled: 2-line block ×3, first 2 shown]
	v_add_co_u32_e32 v30, vcc, s2, v86
	s_movk_i32 s2, 0x104
	v_pk_add_f16 v14, v6, v14 neg_lo:[0,1] neg_hi:[0,1]
	s_waitcnt lgkmcnt(0)
	; wave barrier
	ds_write_b64 v65, v[24:25]
	ds_write_b64 v66, v[28:29]
	;; [unrolled: 1-line block ×3, first 2 shown]
	v_pk_fma_f16 v12, v9, 2.0, v13 op_sel_hi:[1,0,1] neg_lo:[0,0,1] neg_hi:[0,0,1]
	v_lshlrev_b32_e32 v42, 2, v27
	s_load_dwordx2 s[4:5], s[4:5], 0x8
	v_add_co_u32_e32 v31, vcc, s2, v86
	s_movk_i32 s2, 0x138
	v_pk_add_f16 v15, v7, v15 neg_lo:[0,1] neg_hi:[0,1]
	ds_write_b64 v42, v[12:13] offset:1248
	v_lshlrev_b32_e32 v92, 3, v30
	v_pk_fma_f16 v13, v6, 2.0, v14 op_sel_hi:[1,0,1] neg_lo:[0,0,1] neg_hi:[0,0,1]
	v_add_co_u32_e32 v33, vcc, s2, v86
	v_pk_add_f16 v16, v4, v16 neg_lo:[0,1] neg_hi:[0,1]
	ds_write_b64 v92, v[13:14]
	v_lshlrev_b32_e32 v94, 3, v31
	v_pk_fma_f16 v14, v7, 2.0, v15 op_sel_hi:[1,0,1] neg_lo:[0,0,1] neg_hi:[0,0,1]
	s_movk_i32 s2, 0x208
	v_pk_add_f16 v17, v5, v17 neg_lo:[0,1] neg_hi:[0,1]
	v_pk_add_f16 v32, v2, v18 neg_lo:[0,1] neg_hi:[0,1]
	ds_write_b64 v94, v[14:15]
	v_lshlrev_b32_e32 v95, 3, v33
	v_pk_fma_f16 v15, v4, 2.0, v16 op_sel_hi:[1,0,1] neg_lo:[0,0,1] neg_hi:[0,0,1]
	v_add_co_u32_e32 v26, vcc, s2, v86
	v_pk_add_f16 v18, v3, v19 neg_lo:[0,1] neg_hi:[0,1]
	v_lshlrev_b32_e32 v29, 1, v31
	ds_write_b64 v95, v[15:16]
	v_pk_fma_f16 v16, v5, 2.0, v17 op_sel_hi:[1,0,1] neg_lo:[0,0,1] neg_hi:[0,0,1]
	v_pk_fma_f16 v31, v2, 2.0, v32 op_sel_hi:[1,0,1] neg_lo:[0,0,1] neg_hi:[0,0,1]
	v_add_u32_e32 v2, 0x800, v42
	v_pk_fma_f16 v0, v23, 2.0, v1 op_sel_hi:[1,0,1] neg_lo:[0,0,1] neg_hi:[0,0,1]
	v_lshlrev_b32_e32 v41, 1, v46
	v_lshlrev_b32_e32 v40, 1, v45
	v_add_u32_e32 v39, 0x138, v27
	v_lshlrev_b32_e32 v28, 1, v30
	v_lshlrev_b32_e32 v30, 1, v33
	v_add_u32_e32 v102, 0x2d8, v27
	v_add_u32_e32 v105, 0x340, v27
	ds_write2_b64 v2, v[16:17], v[31:32] offset0:108 offset1:160
	v_add_u32_e32 v109, 0x3a8, v27
	v_pk_fma_f16 v17, v3, 2.0, v18 op_sel_hi:[1,0,1] neg_lo:[0,0,1] neg_hi:[0,0,1]
	v_lshlrev_b32_e32 v93, 3, v26
	ds_write_b64 v42, v[17:18] offset:3744
	s_and_saveexec_b64 s[2:3], s[0:1]
	s_cbranch_execz .LBB0_7
; %bb.6:
	ds_write_b64 v93, v[0:1]
.LBB0_7:
	s_or_b64 exec, exec, s[2:3]
	v_add_u32_e32 v2, 0x800, v67
	s_waitcnt lgkmcnt(0)
	; wave barrier
	s_waitcnt lgkmcnt(0)
	ds_read2_b32 v[6:7], v67 offset1:52
	ds_read2_b32 v[12:13], v2 offset0:34 offset1:86
	ds_read2_b32 v[10:11], v67 offset0:104 offset1:156
	;; [unrolled: 1-line block ×3, first 2 shown]
	v_add_u32_e32 v2, 0x200, v67
	ds_read2_b32 v[8:9], v2 offset0:80 offset1:132
	v_add_u32_e32 v2, 0xa00, v67
	ds_read2_b32 v[16:17], v2 offset0:114 offset1:166
	v_add_u32_e32 v2, 0x400, v67
	v_add_u32_e32 v23, 0xc00, v67
	ds_read2_b32 v[4:5], v2 offset0:56 offset1:108
	ds_read2_b32 v[18:19], v23 offset0:90 offset1:142
	;; [unrolled: 1-line block ×4, first 2 shown]
	s_and_saveexec_b64 s[2:3], s[0:1]
	s_cbranch_execz .LBB0_9
; %bb.8:
	ds_read_b32 v0, v67 offset:2080
	ds_read_b32 v1, v67 offset:4264
.LBB0_9:
	s_or_b64 exec, exec, s[2:3]
	v_and_b32_e32 v90, 1, v86
	v_lshlrev_b32_e32 v25, 2, v90
	global_load_dword v43, v25, s[4:5]
	s_waitcnt lgkmcnt(8)
	v_lshrrev_b32_e32 v31, 16, v12
	s_waitcnt lgkmcnt(0)
	v_lshrrev_b32_e32 v57, 16, v1
	v_lshrrev_b32_e32 v25, 16, v6
	;; [unrolled: 1-line block ×13, first 2 shown]
	s_movk_i32 s2, 0x7c
	v_lshrrev_b32_e32 v32, 16, v7
	v_lshrrev_b32_e32 v52, 16, v19
	v_lshrrev_b32_e32 v34, 16, v10
	s_waitcnt lgkmcnt(0)
	; wave barrier
	v_lshrrev_b32_e32 v36, 16, v11
	v_lshrrev_b32_e32 v38, 16, v8
	s_movk_i32 s3, 0x2fc
	v_lshrrev_b32_e32 v51, 16, v5
	v_lshrrev_b32_e32 v55, 16, v3
	s_waitcnt vmcnt(0)
	v_mul_f16_sdwa v59, v12, v43 dst_sel:DWORD dst_unused:UNUSED_PAD src0_sel:DWORD src1_sel:WORD_1
	v_mul_f16_sdwa v58, v31, v43 dst_sel:DWORD dst_unused:UNUSED_PAD src0_sel:DWORD src1_sel:WORD_1
	v_mul_f16_sdwa v99, v17, v43 dst_sel:DWORD dst_unused:UNUSED_PAD src0_sel:DWORD src1_sel:WORD_1
	v_mul_f16_sdwa v111, v57, v43 dst_sel:DWORD dst_unused:UNUSED_PAD src0_sel:DWORD src1_sel:WORD_1
	v_fma_f16 v31, v31, v43, v59
	v_mul_f16_sdwa v62, v35, v43 dst_sel:DWORD dst_unused:UNUSED_PAD src0_sel:DWORD src1_sel:WORD_1
	v_mul_f16_sdwa v64, v37, v43 dst_sel:DWORD dst_unused:UNUSED_PAD src0_sel:DWORD src1_sel:WORD_1
	;; [unrolled: 1-line block ×9, first 2 shown]
	v_fma_f16 v12, v12, v43, -v58
	v_fma_f16 v48, v48, v43, v99
	v_fma_f16 v1, v1, v43, -v111
	v_sub_f16_e32 v31, v25, v31
	v_mul_f16_sdwa v60, v33, v43 dst_sel:DWORD dst_unused:UNUSED_PAD src0_sel:DWORD src1_sel:WORD_1
	v_mul_f16_sdwa v61, v13, v43 dst_sel:DWORD dst_unused:UNUSED_PAD src0_sel:DWORD src1_sel:WORD_1
	;; [unrolled: 1-line block ×5, first 2 shown]
	v_fma_f16 v14, v14, v43, -v62
	v_fma_f16 v15, v15, v43, -v64
	;; [unrolled: 1-line block ×3, first 2 shown]
	v_fma_f16 v50, v50, v43, v101
	v_fma_f16 v23, v23, v43, -v106
	v_fma_f16 v54, v54, v43, v107
	v_fma_f16 v24, v24, v43, -v108
	v_fma_f16 v57, v57, v43, v112
	v_sub_f16_e32 v58, v6, v12
	v_fma_f16 v62, v25, 2.0, -v31
	v_sub_f16_e32 v64, v47, v48
	v_sub_f16_e32 v25, v0, v1
	v_lshrrev_b32_e32 v1, 16, v0
	v_mul_f16_sdwa v96, v44, v43 dst_sel:DWORD dst_unused:UNUSED_PAD src0_sel:DWORD src1_sel:WORD_1
	v_mul_f16_sdwa v104, v19, v43 dst_sel:DWORD dst_unused:UNUSED_PAD src0_sel:DWORD src1_sel:WORD_1
	v_fma_f16 v13, v13, v43, -v60
	v_fma_f16 v33, v33, v43, v61
	v_fma_f16 v37, v37, v43, v89
	v_fma_f16 v6, v6, 2.0, -v58
	v_fma_f16 v89, v47, 2.0, -v64
	v_sub_f16_e32 v12, v4, v18
	v_sub_f16_e32 v47, v49, v50
	v_sub_f16_e32 v18, v2, v23
	v_sub_f16_e32 v50, v53, v54
	v_sub_f16_e32 v23, v3, v24
	v_sub_f16_e32 v54, v1, v57
	v_fma_f16 v24, v0, 2.0, -v25
	v_and_or_b32 v0, v27, s2, v90
	v_mul_f16_sdwa v97, v16, v43 dst_sel:DWORD dst_unused:UNUSED_PAD src0_sel:DWORD src1_sel:WORD_1
	v_mul_f16_sdwa v103, v52, v43 dst_sel:DWORD dst_unused:UNUSED_PAD src0_sel:DWORD src1_sel:WORD_1
	v_fma_f16 v16, v16, v43, -v96
	v_fma_f16 v52, v52, v43, v104
	v_sub_f16_e32 v59, v7, v13
	v_sub_f16_e32 v33, v32, v33
	v_fma_f16 v104, v49, 2.0, -v47
	v_fma_f16 v49, v53, 2.0, -v50
	;; [unrolled: 1-line block ×3, first 2 shown]
	v_lshlrev_b32_e32 v96, 2, v0
	v_pack_b32_f16 v0, v6, v62
	v_pack_b32_f16 v1, v58, v31
	s_movk_i32 s2, 0xfc
	v_fma_f16 v35, v35, v43, v63
	v_fma_f16 v7, v7, 2.0, -v59
	v_fma_f16 v32, v32, 2.0, -v33
	ds_write2_b32 v96, v0, v1 offset1:2
	v_and_or_b32 v0, v41, s2, v90
	v_fma_f16 v44, v44, v43, v97
	v_sub_f16_e32 v14, v10, v14
	v_sub_f16_e32 v35, v34, v35
	v_lshlrev_b32_e32 v97, 2, v0
	v_pack_b32_f16 v0, v7, v32
	v_pack_b32_f16 v1, v59, v33
	s_movk_i32 s2, 0x1fc
	v_fma_f16 v10, v10, 2.0, -v14
	v_fma_f16 v34, v34, 2.0, -v35
	ds_write2_b32 v97, v0, v1 offset1:2
	v_and_or_b32 v0, v40, s2, v90
	v_fma_f16 v17, v17, v43, -v98
	v_sub_f16_e32 v15, v11, v15
	v_sub_f16_e32 v37, v36, v37
	v_lshlrev_b32_e32 v98, 2, v0
	v_pack_b32_f16 v0, v10, v34
	v_pack_b32_f16 v1, v14, v35
	v_fma_f16 v11, v11, 2.0, -v15
	v_fma_f16 v36, v36, 2.0, -v37
	ds_write2_b32 v98, v0, v1 offset1:2
	v_and_or_b32 v0, v39, s2, v90
	v_sub_f16_e32 v60, v8, v16
	v_sub_f16_e32 v61, v38, v44
	v_lshlrev_b32_e32 v99, 2, v0
	v_pack_b32_f16 v0, v11, v36
	v_pack_b32_f16 v1, v15, v37
	s_movk_i32 s2, 0x3fc
	v_fma_f16 v8, v8, 2.0, -v60
	v_fma_f16 v38, v38, 2.0, -v61
	ds_write2_b32 v99, v0, v1 offset1:2
	v_and_or_b32 v0, v28, s2, v90
	v_sub_f16_e32 v63, v9, v17
	v_lshlrev_b32_e32 v100, 2, v0
	v_pack_b32_f16 v0, v8, v38
	v_pack_b32_f16 v1, v60, v61
	v_fma_f16 v9, v9, 2.0, -v63
	ds_write2_b32 v100, v0, v1 offset1:2
	v_and_or_b32 v0, v29, s3, v90
	v_lshlrev_b32_e32 v101, 2, v0
	v_pack_b32_f16 v0, v9, v89
	v_pack_b32_f16 v1, v63, v64
	v_fma_f16 v19, v19, v43, -v103
	v_fma_f16 v4, v4, 2.0, -v12
	ds_write2_b32 v101, v0, v1 offset1:2
	v_and_or_b32 v0, v30, s3, v90
	v_sub_f16_e32 v16, v5, v19
	v_sub_f16_e32 v44, v51, v52
	v_lshlrev_b32_e32 v103, 2, v0
	v_pack_b32_f16 v0, v4, v104
	v_pack_b32_f16 v1, v12, v47
	v_fma_f16 v13, v5, 2.0, -v16
	v_fma_f16 v48, v51, 2.0, -v44
	ds_write2_b32 v103, v0, v1 offset1:2
	v_and_or_b32 v0, v102, s2, v90
	v_lshlrev_b32_e32 v104, 2, v0
	v_pack_b32_f16 v0, v13, v48
	v_pack_b32_f16 v1, v16, v44
	v_fma_f16 v56, v56, v43, v110
	v_fma_f16 v17, v2, 2.0, -v18
	ds_write2_b32 v104, v0, v1 offset1:2
	v_and_or_b32 v0, v105, s2, v90
	v_sub_f16_e32 v52, v55, v56
	v_lshlrev_b32_e32 v107, 2, v0
	v_pack_b32_f16 v0, v17, v49
	v_pack_b32_f16 v1, v18, v50
	s_movk_i32 s2, 0x7fc
	v_fma_f16 v19, v3, 2.0, -v23
	v_fma_f16 v51, v55, 2.0, -v52
	ds_write2_b32 v107, v0, v1 offset1:2
	v_and_or_b32 v0, v109, s2, v90
	v_lshlrev_b32_e32 v108, 2, v0
	v_pack_b32_f16 v0, v19, v51
	v_pack_b32_f16 v1, v23, v52
	v_lshlrev_b32_e32 v106, 1, v26
	ds_write2_b32 v108, v0, v1 offset1:2
	s_and_saveexec_b64 s[2:3], s[0:1]
	s_cbranch_execz .LBB0_11
; %bb.10:
	s_movk_i32 s14, 0x47c
	v_and_or_b32 v0, v106, s14, v90
	s_mov_b32 s14, 0x5040100
	v_lshlrev_b32_e32 v0, 2, v0
	v_perm_b32 v1, v53, v24, s14
	v_perm_b32 v2, v54, v25, s14
	ds_write2_b32 v0, v1, v2 offset1:2
.LBB0_11:
	s_or_b64 exec, exec, s[2:3]
	v_add_u32_e32 v0, 0x600, v67
	s_waitcnt lgkmcnt(0)
	; wave barrier
	s_waitcnt lgkmcnt(0)
	ds_read2_b32 v[14:15], v67 offset1:84
	ds_read2_b32 v[27:28], v67 offset0:168 offset1:252
	v_add_u32_e32 v2, 0x400, v67
	ds_read2_b32 v[31:32], v0 offset0:120 offset1:204
	v_add_u32_e32 v1, 0x800, v67
	v_add_u32_e32 v0, 0xc00, v67
	ds_read2_b32 v[29:30], v2 offset0:80 offset1:164
	ds_read2_b32 v[33:34], v1 offset0:160 offset1:244
	;; [unrolled: 1-line block ×3, first 2 shown]
	ds_read_b32 v55, v67 offset:4032
	v_cmp_gt_u16_e64 s[2:3], 32, v86
                                        ; implicit-def: $vgpr60
                                        ; implicit-def: $vgpr37
                                        ; implicit-def: $vgpr59
                                        ; implicit-def: $vgpr57
                                        ; implicit-def: $vgpr56
                                        ; implicit-def: $vgpr58
	s_and_saveexec_b64 s[14:15], s[2:3]
	s_cbranch_execz .LBB0_13
; %bb.12:
	v_add_u32_e32 v3, 0x200, v67
	ds_read2_b32 v[12:13], v67 offset0:52 offset1:136
	ds_read2_b32 v[16:17], v3 offset0:92 offset1:176
	;; [unrolled: 1-line block ×4, first 2 shown]
	v_add_u32_e32 v1, 0xa00, v67
	ds_read2_b32 v[25:26], v1 offset0:84 offset1:168
	ds_read2_b32 v[37:38], v0 offset0:124 offset1:208
	ds_read_b32 v56, v67 offset:4240
	s_waitcnt lgkmcnt(6)
	v_lshrrev_b32_e32 v47, 16, v12
	v_lshrrev_b32_e32 v48, 16, v13
	s_waitcnt lgkmcnt(5)
	v_lshrrev_b32_e32 v44, 16, v16
	v_lshrrev_b32_e32 v49, 16, v17
	;; [unrolled: 3-line block ×6, first 2 shown]
	s_waitcnt lgkmcnt(0)
	v_lshrrev_b32_e32 v58, 16, v56
.LBB0_13:
	s_or_b64 exec, exec, s[14:15]
	v_and_b32_e32 v89, 3, v86
	v_mul_u32_u24_e32 v0, 12, v89
	v_lshlrev_b32_e32 v61, 2, v0
	global_load_dwordx4 v[4:7], v61, s[4:5] offset:8
	global_load_dwordx4 v[0:3], v61, s[4:5] offset:24
	;; [unrolled: 1-line block ×3, first 2 shown]
	s_waitcnt lgkmcnt(3)
	v_lshrrev_b32_e32 v64, 16, v29
	v_lshrrev_b32_e32 v112, 16, v32
	;; [unrolled: 1-line block ×3, first 2 shown]
	s_waitcnt lgkmcnt(2)
	v_lshrrev_b32_e32 v113, 16, v33
	s_waitcnt lgkmcnt(1)
	v_lshrrev_b32_e32 v115, 16, v35
	v_lshrrev_b32_e32 v110, 16, v30
	;; [unrolled: 1-line block ×7, first 2 shown]
	s_waitcnt lgkmcnt(0)
	v_lshrrev_b32_e32 v117, 16, v55
	s_movk_i32 s16, 0x3b15
	s_movk_i32 s18, 0x388b
	;; [unrolled: 1-line block ×3, first 2 shown]
	s_mov_b32 s20, 0xb5ac
	s_mov_b32 s21, 0xb9fd
	;; [unrolled: 1-line block ×3, first 2 shown]
	s_waitcnt lgkmcnt(0)
	; wave barrier
	s_mov_b32 s31, 0xb770
	s_mov_b32 s30, 0xba95
	;; [unrolled: 1-line block ×6, first 2 shown]
	s_movk_i32 s34, 0x394e
	s_movk_i32 s24, 0x3bf1
	;; [unrolled: 1-line block ×6, first 2 shown]
	s_waitcnt vmcnt(2)
	v_mul_f16_sdwa v121, v27, v5 dst_sel:DWORD dst_unused:UNUSED_PAD src0_sel:DWORD src1_sel:WORD_1
	v_mul_f16_sdwa v124, v64, v7 dst_sel:DWORD dst_unused:UNUSED_PAD src0_sel:DWORD src1_sel:WORD_1
	s_waitcnt vmcnt(1)
	v_mul_f16_sdwa v130, v112, v2 dst_sel:DWORD dst_unused:UNUSED_PAD src0_sel:DWORD src1_sel:WORD_1
	v_mul_f16_sdwa v150, v51, v0 dst_sel:DWORD dst_unused:UNUSED_PAD src0_sel:DWORD src1_sel:WORD_1
	;; [unrolled: 1-line block ×7, first 2 shown]
	v_fma_f16 v62, v62, v5, v121
	v_fma_f16 v121, v29, v7, -v124
	v_fma_f16 v124, v32, v2, -v130
	;; [unrolled: 1-line block ×3, first 2 shown]
	v_mul_f16_sdwa v19, v52, v1 dst_sel:DWORD dst_unused:UNUSED_PAD src0_sel:DWORD src1_sel:WORD_1
	v_mul_f16_sdwa v127, v30, v0 dst_sel:DWORD dst_unused:UNUSED_PAD src0_sel:DWORD src1_sel:WORD_1
	;; [unrolled: 1-line block ×3, first 2 shown]
	s_waitcnt vmcnt(0)
	v_mul_f16_sdwa v136, v115, v9 dst_sel:DWORD dst_unused:UNUSED_PAD src0_sel:DWORD src1_sel:WORD_1
	v_fma_f16 v64, v64, v7, v125
	v_fma_f16 v125, v33, v3, -v132
	v_fma_f16 v33, v23, v1, -v19
	v_mul_f16_sdwa v19, v23, v1 dst_sel:DWORD dst_unused:UNUSED_PAD src0_sel:DWORD src1_sel:WORD_1
	v_mul_f16_sdwa v23, v53, v2 dst_sel:DWORD dst_unused:UNUSED_PAD src0_sel:DWORD src1_sel:WORD_1
	;; [unrolled: 1-line block ×5, first 2 shown]
	v_fma_f16 v110, v110, v0, v127
	v_fma_f16 v127, v35, v9, -v136
	v_fma_f16 v35, v24, v2, -v23
	v_mul_f16_sdwa v23, v24, v2 dst_sel:DWORD dst_unused:UNUSED_PAD src0_sel:DWORD src1_sel:WORD_1
	v_mul_f16_sdwa v118, v61, v4 dst_sel:DWORD dst_unused:UNUSED_PAD src0_sel:DWORD src1_sel:WORD_1
	;; [unrolled: 1-line block ×5, first 2 shown]
	v_fma_f16 v61, v61, v4, v119
	v_fma_f16 v119, v27, v5, -v120
	v_fma_f16 v27, v53, v2, v23
	v_mul_f16_sdwa v23, v54, v3 dst_sel:DWORD dst_unused:UNUSED_PAD src0_sel:DWORD src1_sel:WORD_1
	v_mul_f16_sdwa v123, v28, v6 dst_sel:DWORD dst_unused:UNUSED_PAD src0_sel:DWORD src1_sel:WORD_1
	v_fma_f16 v120, v28, v6, -v122
	v_fma_f16 v28, v13, v4, -v142
	v_fma_f16 v13, v48, v4, v143
	v_fma_f16 v48, v25, v3, -v23
	v_mul_f16_sdwa v23, v25, v3 dst_sel:DWORD dst_unused:UNUSED_PAD src0_sel:DWORD src1_sel:WORD_1
	v_mul_f16_sdwa v144, v44, v5 dst_sel:DWORD dst_unused:UNUSED_PAD src0_sel:DWORD src1_sel:WORD_1
	;; [unrolled: 1-line block ×3, first 2 shown]
	v_fma_f16 v25, v54, v3, v23
	v_mul_f16_sdwa v23, v60, v8 dst_sel:DWORD dst_unused:UNUSED_PAD src0_sel:DWORD src1_sel:WORD_1
	v_mul_f16_sdwa v145, v16, v5 dst_sel:DWORD dst_unused:UNUSED_PAD src0_sel:DWORD src1_sel:WORD_1
	;; [unrolled: 1-line block ×3, first 2 shown]
	v_fma_f16 v29, v16, v5, -v144
	v_fma_f16 v16, v49, v6, v147
	v_fma_f16 v49, v26, v8, -v23
	v_mul_f16_sdwa v23, v26, v8 dst_sel:DWORD dst_unused:UNUSED_PAD src0_sel:DWORD src1_sel:WORD_1
	v_mul_f16_sdwa v149, v18, v7 dst_sel:DWORD dst_unused:UNUSED_PAD src0_sel:DWORD src1_sel:WORD_1
	v_fma_f16 v26, v60, v8, v23
	v_mul_f16_sdwa v23, v59, v9 dst_sel:DWORD dst_unused:UNUSED_PAD src0_sel:DWORD src1_sel:WORD_1
	v_mul_f16_sdwa v134, v114, v8 dst_sel:DWORD dst_unused:UNUSED_PAD src0_sel:DWORD src1_sel:WORD_1
	;; [unrolled: 1-line block ×3, first 2 shown]
	v_fma_f16 v122, v30, v0, -v126
	v_fma_f16 v30, v17, v6, -v146
	v_fma_f16 v17, v50, v7, v149
	v_fma_f16 v50, v37, v9, -v23
	v_mul_f16_sdwa v23, v37, v9 dst_sel:DWORD dst_unused:UNUSED_PAD src0_sel:DWORD src1_sel:WORD_1
	v_mul_f16_sdwa v128, v111, v1 dst_sel:DWORD dst_unused:UNUSED_PAD src0_sel:DWORD src1_sel:WORD_1
	;; [unrolled: 1-line block ×3, first 2 shown]
	v_fma_f16 v126, v34, v8, -v134
	v_fma_f16 v34, v59, v9, v23
	v_mul_f16_sdwa v23, v57, v10 dst_sel:DWORD dst_unused:UNUSED_PAD src0_sel:DWORD src1_sel:WORD_1
	v_mul_f16_sdwa v129, v31, v1 dst_sel:DWORD dst_unused:UNUSED_PAD src0_sel:DWORD src1_sel:WORD_1
	;; [unrolled: 1-line block ×3, first 2 shown]
	v_fma_f16 v63, v63, v6, v123
	v_fma_f16 v123, v31, v1, -v128
	v_fma_f16 v31, v18, v7, -v148
	v_fma_f16 v18, v51, v0, v151
	v_fma_f16 v51, v38, v10, -v23
	v_mul_f16_sdwa v23, v38, v10 dst_sel:DWORD dst_unused:UNUSED_PAD src0_sel:DWORD src1_sel:WORD_1
	v_mul_f16_sdwa v139, v36, v10 dst_sel:DWORD dst_unused:UNUSED_PAD src0_sel:DWORD src1_sel:WORD_1
	v_fma_f16 v128, v36, v10, -v138
	v_fma_f16 v36, v57, v10, v23
	v_mul_f16_sdwa v23, v58, v11 dst_sel:DWORD dst_unused:UNUSED_PAD src0_sel:DWORD src1_sel:WORD_1
	v_fma_f16 v118, v15, v4, -v118
	v_fma_f16 v38, v56, v11, -v23
	v_mul_f16_sdwa v23, v56, v11 dst_sel:DWORD dst_unused:UNUSED_PAD src0_sel:DWORD src1_sel:WORD_1
	v_fma_f16 v37, v58, v11, v23
	v_add_f16_e32 v23, v14, v118
	v_add_f16_sdwa v24, v14, v61 dst_sel:DWORD dst_unused:UNUSED_PAD src0_sel:WORD_1 src1_sel:DWORD
	v_add_f16_e32 v23, v23, v119
	v_add_f16_e32 v24, v24, v62
	;; [unrolled: 1-line block ×6, first 2 shown]
	v_fma_f16 v111, v111, v1, v129
	v_add_f16_e32 v23, v23, v122
	v_add_f16_e32 v24, v24, v110
	v_fma_f16 v112, v112, v2, v131
	v_add_f16_e32 v23, v23, v123
	v_add_f16_e32 v24, v24, v111
	;; [unrolled: 3-line block ×4, first 2 shown]
	v_mul_f16_sdwa v140, v117, v11 dst_sel:DWORD dst_unused:UNUSED_PAD src0_sel:DWORD src1_sel:WORD_1
	v_mul_f16_sdwa v141, v55, v11 dst_sel:DWORD dst_unused:UNUSED_PAD src0_sel:DWORD src1_sel:WORD_1
	v_fma_f16 v115, v115, v9, v137
	v_add_f16_e32 v23, v23, v126
	v_add_f16_e32 v24, v24, v114
	v_fma_f16 v116, v116, v10, v139
	v_fma_f16 v129, v55, v11, -v140
	v_fma_f16 v117, v117, v11, v141
	v_add_f16_e32 v23, v23, v127
	v_add_f16_e32 v24, v24, v115
	v_fma_f16 v19, v52, v1, v19
	v_add_f16_e32 v23, v23, v128
	v_add_f16_e32 v24, v24, v116
	v_sub_f16_e32 v52, v118, v129
	v_sub_f16_e32 v53, v61, v117
	v_fma_f16 v15, v44, v5, v145
	v_add_f16_e32 v44, v23, v129
	v_add_f16_e32 v55, v24, v117
	;; [unrolled: 1-line block ×4, first 2 shown]
	v_mul_f16_e32 v54, 0xb770, v53
	v_mul_f16_e32 v57, 0xb770, v52
	;; [unrolled: 1-line block ×12, first 2 shown]
	v_fma_f16 v56, v23, s16, -v54
	v_fma_f16 v58, v24, s16, v57
	v_fma_f16 v54, v23, s16, v54
	v_fma_f16 v57, v24, s16, -v57
	v_fma_f16 v60, v23, s18, -v59
	v_fma_f16 v117, v24, s18, v61
	v_fma_f16 v59, v23, s18, v59
	v_fma_f16 v61, v24, s18, -v61
	;; [unrolled: 4-line block ×6, first 2 shown]
	v_add_f16_e32 v52, v62, v116
	v_sub_f16_e32 v62, v62, v116
	v_add_f16_e32 v56, v14, v56
	v_add_f16_sdwa v58, v14, v58 dst_sel:DWORD dst_unused:UNUSED_PAD src0_sel:WORD_1 src1_sel:DWORD
	v_add_f16_e32 v54, v14, v54
	v_add_f16_sdwa v57, v14, v57 dst_sel:DWORD dst_unused:UNUSED_PAD src0_sel:WORD_1 src1_sel:DWORD
	;; [unrolled: 2-line block ×12, first 2 shown]
	v_add_f16_e32 v24, v119, v128
	v_mul_f16_e32 v116, 0xba95, v62
	v_sub_f16_e32 v53, v119, v128
	v_fma_f16 v119, v24, s18, -v116
	v_add_f16_e32 v56, v119, v56
	v_mul_f16_e32 v119, 0xba95, v53
	v_fma_f16 v116, v24, s18, v116
	v_add_f16_e32 v54, v116, v54
	v_fma_f16 v116, v52, s18, -v119
	v_add_f16_e32 v57, v116, v57
	v_mul_f16_e32 v116, 0xbb7b, v62
	v_fma_f16 v128, v52, s18, v119
	v_fma_f16 v119, v24, s20, -v116
	v_add_f16_e32 v60, v119, v60
	v_mul_f16_e32 v119, 0xbb7b, v53
	v_fma_f16 v116, v24, s20, v116
	v_add_f16_e32 v59, v116, v59
	v_fma_f16 v116, v52, s20, -v119
	v_add_f16_e32 v58, v128, v58
	v_fma_f16 v128, v52, s20, v119
	v_add_f16_e32 v61, v116, v61
	v_mul_f16_e32 v116, 0xb3a8, v62
	v_add_f16_e32 v117, v128, v117
	v_fma_f16 v119, v24, s22, -v116
	v_mul_f16_e32 v128, 0xb3a8, v53
	v_fma_f16 v116, v24, s22, v116
	v_add_f16_e32 v119, v119, v129
	v_fma_f16 v129, v52, s22, v128
	v_add_f16_e32 v116, v116, v118
	v_fma_f16 v118, v52, s22, -v128
	v_mul_f16_e32 v128, 0x394e, v62
	v_add_f16_e32 v129, v129, v131
	v_add_f16_e32 v118, v118, v130
	v_fma_f16 v130, v24, s21, -v128
	v_mul_f16_e32 v131, 0x394e, v53
	v_fma_f16 v128, v24, s21, v128
	v_add_f16_e32 v130, v130, v133
	v_fma_f16 v133, v52, s21, v131
	v_add_f16_e32 v128, v128, v132
	v_fma_f16 v131, v52, s21, -v131
	v_mul_f16_e32 v132, 0x3bf1, v62
	v_add_f16_e32 v131, v131, v134
	v_fma_f16 v134, v24, s19, -v132
	v_fma_f16 v132, v24, s19, v132
	v_mul_f16_e32 v62, 0x3770, v62
	v_add_f16_e32 v133, v133, v135
	v_mul_f16_e32 v135, 0x3bf1, v53
	v_add_f16_e32 v132, v132, v136
	v_fma_f16 v136, v24, s16, -v62
	v_mul_f16_e32 v53, 0x3770, v53
	v_fma_f16 v24, v24, s16, v62
	v_add_f16_e32 v134, v134, v137
	v_fma_f16 v137, v52, s19, v135
	v_fma_f16 v135, v52, s19, -v135
	v_add_f16_e32 v23, v24, v23
	v_fma_f16 v24, v52, s16, -v53
	v_sub_f16_e32 v62, v63, v115
	v_add_f16_e32 v135, v135, v138
	v_fma_f16 v138, v52, s16, v53
	v_add_f16_e32 v14, v24, v14
	v_add_f16_e32 v24, v120, v127
	;; [unrolled: 1-line block ×3, first 2 shown]
	v_mul_f16_e32 v63, 0xbbf1, v62
	v_sub_f16_e32 v53, v120, v127
	v_fma_f16 v115, v24, s19, -v63
	v_add_f16_e32 v56, v115, v56
	v_mul_f16_e32 v115, 0xbbf1, v53
	v_fma_f16 v63, v24, s19, v63
	v_add_f16_e32 v54, v63, v54
	v_fma_f16 v63, v52, s19, -v115
	v_add_f16_e32 v57, v63, v57
	v_mul_f16_e32 v63, 0xb3a8, v62
	v_fma_f16 v120, v52, s19, v115
	v_fma_f16 v115, v24, s22, -v63
	v_add_f16_e32 v60, v115, v60
	v_mul_f16_e32 v115, 0xb3a8, v53
	v_fma_f16 v63, v24, s22, v63
	v_add_f16_e32 v59, v63, v59
	v_fma_f16 v63, v52, s22, -v115
	v_add_f16_e32 v61, v63, v61
	v_mul_f16_e32 v63, 0x3b7b, v62
	v_add_f16_e32 v58, v120, v58
	v_fma_f16 v120, v52, s22, v115
	v_fma_f16 v115, v24, s20, -v63
	v_add_f16_e32 v115, v115, v119
	v_mul_f16_e32 v119, 0x3b7b, v53
	v_fma_f16 v63, v24, s20, v63
	v_add_f16_e32 v63, v63, v116
	v_fma_f16 v116, v52, s20, -v119
	v_add_f16_e32 v116, v116, v118
	v_mul_f16_e32 v118, 0x3770, v62
	v_add_f16_e32 v117, v120, v117
	v_fma_f16 v120, v52, s20, v119
	v_fma_f16 v119, v24, s16, -v118
	v_fma_f16 v118, v24, s16, v118
	v_mul_f16_e32 v127, 0x3770, v53
	v_add_f16_e32 v118, v118, v128
	v_mul_f16_e32 v128, 0xba95, v62
	v_add_f16_e32 v120, v120, v129
	v_add_f16_e32 v119, v119, v130
	v_fma_f16 v129, v52, s16, v127
	v_fma_f16 v127, v52, s16, -v127
	v_fma_f16 v130, v24, s18, -v128
	v_fma_f16 v128, v24, s18, v128
	v_mul_f16_e32 v62, 0xb94e, v62
	v_add_f16_e32 v127, v127, v131
	v_mul_f16_e32 v131, 0xba95, v53
	v_add_f16_e32 v128, v128, v132
	v_fma_f16 v132, v24, s21, -v62
	v_mul_f16_e32 v53, 0xb94e, v53
	v_fma_f16 v24, v24, s21, v62
	v_add_f16_e32 v23, v24, v23
	v_fma_f16 v24, v52, s21, -v53
	v_sub_f16_e32 v62, v64, v114
	v_add_f16_e32 v129, v129, v133
	v_add_f16_e32 v130, v130, v134
	v_fma_f16 v133, v52, s18, v131
	v_fma_f16 v131, v52, s18, -v131
	v_fma_f16 v134, v52, s21, v53
	v_add_f16_e32 v14, v24, v14
	v_add_f16_e32 v24, v121, v126
	;; [unrolled: 1-line block ×3, first 2 shown]
	v_mul_f16_e32 v64, 0xbb7b, v62
	v_sub_f16_e32 v53, v121, v126
	v_fma_f16 v114, v24, s20, -v64
	v_add_f16_e32 v56, v114, v56
	v_mul_f16_e32 v114, 0xbb7b, v53
	v_fma_f16 v64, v24, s20, v64
	v_add_f16_e32 v54, v64, v54
	v_fma_f16 v64, v52, s20, -v114
	v_add_f16_e32 v57, v64, v57
	v_mul_f16_e32 v64, 0x394e, v62
	v_fma_f16 v121, v52, s20, v114
	v_fma_f16 v114, v24, s21, -v64
	v_add_f16_e32 v60, v114, v60
	v_mul_f16_e32 v114, 0x394e, v53
	v_fma_f16 v64, v24, s21, v64
	v_add_f16_e32 v59, v64, v59
	v_fma_f16 v64, v52, s21, -v114
	v_add_f16_e32 v61, v64, v61
	v_mul_f16_e32 v64, 0x3770, v62
	v_add_f16_e32 v58, v121, v58
	v_fma_f16 v121, v52, s21, v114
	v_fma_f16 v114, v24, s16, -v64
	v_add_f16_e32 v114, v114, v115
	v_mul_f16_e32 v115, 0x3770, v53
	v_fma_f16 v64, v24, s16, v64
	v_add_f16_e32 v117, v121, v117
	v_fma_f16 v121, v52, s16, v115
	v_add_f16_e32 v63, v64, v63
	v_fma_f16 v64, v52, s16, -v115
	v_mul_f16_e32 v115, 0xbbf1, v62
	v_add_f16_e32 v64, v64, v116
	v_fma_f16 v116, v24, s19, -v115
	v_add_f16_e32 v116, v116, v119
	v_mul_f16_e32 v119, 0xbbf1, v53
	v_fma_f16 v115, v24, s19, v115
	v_add_f16_e32 v120, v121, v120
	v_fma_f16 v121, v52, s19, v119
	v_add_f16_e32 v115, v115, v118
	v_fma_f16 v118, v52, s19, -v119
	v_mul_f16_e32 v119, 0x33a8, v62
	v_fma_f16 v126, v24, s22, -v119
	v_fma_f16 v119, v24, s22, v119
	v_mul_f16_e32 v62, 0x3a95, v62
	v_add_f16_e32 v118, v118, v127
	v_mul_f16_e32 v127, 0x33a8, v53
	v_add_f16_e32 v119, v119, v128
	v_fma_f16 v128, v24, s18, -v62
	v_mul_f16_e32 v53, 0x3a95, v53
	v_fma_f16 v24, v24, s18, v62
	v_add_f16_e32 v23, v24, v23
	v_fma_f16 v24, v52, s18, -v53
	v_sub_f16_e32 v62, v110, v113
	v_add_f16_e32 v121, v121, v129
	v_add_f16_e32 v126, v126, v130
	v_fma_f16 v129, v52, s22, v127
	v_fma_f16 v127, v52, s22, -v127
	v_fma_f16 v130, v52, s18, v53
	v_add_f16_e32 v14, v24, v14
	v_add_f16_e32 v24, v122, v125
	;; [unrolled: 1-line block ×3, first 2 shown]
	v_mul_f16_e32 v110, 0xb94e, v62
	v_sub_f16_e32 v53, v122, v125
	v_fma_f16 v113, v24, s21, -v110
	v_add_f16_e32 v56, v113, v56
	v_mul_f16_e32 v113, 0xb94e, v53
	v_fma_f16 v110, v24, s21, v110
	v_add_f16_e32 v54, v110, v54
	v_fma_f16 v110, v52, s21, -v113
	v_add_f16_e32 v57, v110, v57
	v_mul_f16_e32 v110, 0x3bf1, v62
	v_fma_f16 v122, v52, s21, v113
	v_fma_f16 v113, v24, s19, -v110
	v_add_f16_e32 v60, v113, v60
	v_mul_f16_e32 v113, 0x3bf1, v53
	v_fma_f16 v110, v24, s19, v110
	v_add_f16_e32 v59, v110, v59
	v_fma_f16 v110, v52, s19, -v113
	v_add_f16_e32 v61, v110, v61
	v_mul_f16_e32 v110, 0xba95, v62
	v_add_f16_e32 v58, v122, v58
	v_fma_f16 v122, v52, s19, v113
	v_fma_f16 v113, v24, s18, -v110
	v_add_f16_e32 v113, v113, v114
	v_mul_f16_e32 v114, 0xba95, v53
	v_fma_f16 v110, v24, s18, v110
	v_add_f16_e32 v63, v110, v63
	v_fma_f16 v110, v52, s18, -v114
	v_add_f16_e32 v64, v110, v64
	v_mul_f16_e32 v110, 0x33a8, v62
	v_add_f16_e32 v117, v122, v117
	v_fma_f16 v122, v52, s18, v114
	v_fma_f16 v114, v24, s22, -v110
	v_add_f16_e32 v114, v114, v116
	v_mul_f16_e32 v116, 0x33a8, v53
	v_fma_f16 v110, v24, s22, v110
	v_add_f16_e32 v120, v122, v120
	v_fma_f16 v122, v52, s22, v116
	v_add_f16_e32 v110, v110, v115
	v_fma_f16 v115, v52, s22, -v116
	v_mul_f16_e32 v116, 0x3770, v62
	v_add_f16_e32 v121, v122, v121
	v_add_f16_e32 v115, v115, v118
	v_fma_f16 v118, v24, s16, -v116
	v_mul_f16_e32 v122, 0x3770, v53
	v_fma_f16 v116, v24, s16, v116
	v_mul_f16_e32 v62, 0xbb7b, v62
	v_fma_f16 v125, v52, s16, v122
	v_add_f16_e32 v116, v116, v119
	v_fma_f16 v119, v52, s16, -v122
	v_fma_f16 v122, v24, s20, -v62
	v_mul_f16_e32 v53, 0xbb7b, v53
	v_fma_f16 v24, v24, s20, v62
	v_add_f16_e32 v23, v24, v23
	v_fma_f16 v24, v52, s20, -v53
	v_sub_f16_e32 v62, v111, v112
	v_add_f16_e32 v118, v118, v126
	v_fma_f16 v126, v52, s20, v53
	v_add_f16_e32 v14, v24, v14
	v_add_f16_e32 v24, v123, v124
	;; [unrolled: 1-line block ×3, first 2 shown]
	v_mul_f16_e32 v111, 0xb3a8, v62
	v_sub_f16_e32 v53, v123, v124
	v_fma_f16 v112, v24, s22, -v111
	v_add_f16_e32 v142, v112, v56
	v_mul_f16_e32 v56, 0xb3a8, v53
	v_fma_f16 v112, v52, s22, v56
	v_add_f16_e32 v147, v112, v58
	v_fma_f16 v58, v24, s22, v111
	v_add_f16_e32 v182, v58, v54
	v_fma_f16 v54, v52, s22, -v56
	v_add_f16_e32 v189, v54, v57
	v_mul_f16_e32 v54, 0x3770, v62
	v_fma_f16 v56, v24, s16, -v54
	v_add_f16_e32 v149, v56, v60
	v_mul_f16_e32 v56, 0x3770, v53
	v_fma_f16 v54, v24, s16, v54
	v_add_f16_e32 v155, v54, v59
	v_fma_f16 v54, v52, s16, -v56
	v_add_f16_e32 v159, v54, v61
	v_mul_f16_e32 v54, 0xb94e, v62
	v_fma_f16 v57, v52, s16, v56
	v_fma_f16 v56, v24, s21, -v54
	v_add_f16_e32 v113, v56, v113
	v_mul_f16_e32 v56, 0xb94e, v53
	v_fma_f16 v54, v24, s21, v54
	v_add_f16_e32 v160, v54, v63
	v_fma_f16 v54, v52, s21, -v56
	v_add_f16_e32 v163, v54, v64
	v_mul_f16_e32 v54, 0x3a95, v62
	v_add_f16_e32 v117, v57, v117
	v_fma_f16 v57, v52, s21, v56
	v_fma_f16 v56, v24, s18, -v54
	v_add_f16_e32 v114, v56, v114
	v_mul_f16_e32 v56, 0x3a95, v53
	v_fma_f16 v54, v24, s18, v54
	v_add_f16_e32 v110, v54, v110
	v_fma_f16 v54, v52, s18, -v56
	v_add_f16_e32 v115, v54, v115
	v_mul_f16_e32 v54, 0xbb7b, v62
	v_add_f16_e32 v131, v131, v135
	v_add_f16_e32 v151, v57, v120
	v_fma_f16 v57, v52, s18, v56
	v_fma_f16 v56, v24, s20, -v54
	v_add_f16_e32 v137, v137, v139
	v_add_f16_e32 v136, v136, v140
	;; [unrolled: 1-line block ×4, first 2 shown]
	v_mul_f16_e32 v56, 0xbb7b, v53
	v_fma_f16 v54, v24, s20, v54
	v_add_f16_e32 v138, v138, v141
	v_add_f16_e32 v133, v133, v137
	;; [unrolled: 1-line block ×5, first 2 shown]
	v_fma_f16 v54, v52, s20, -v56
	v_add_f16_e32 v134, v134, v138
	v_add_f16_e32 v129, v129, v133
	;; [unrolled: 1-line block ×4, first 2 shown]
	v_mul_f16_e32 v54, 0x3bf1, v62
	v_add_f16_e32 v130, v130, v134
	v_add_f16_e32 v125, v125, v129
	;; [unrolled: 1-line block ×4, first 2 shown]
	v_fma_f16 v57, v52, s20, v56
	v_fma_f16 v56, v24, s19, -v54
	v_mul_f16_e32 v53, 0x3bf1, v53
	v_fma_f16 v24, v24, s19, v54
	v_sub_f16_e32 v127, v13, v37
	v_add_f16_e32 v126, v126, v130
	v_add_f16_e32 v156, v57, v125
	;; [unrolled: 1-line block ×3, first 2 shown]
	v_fma_f16 v56, v52, s19, v53
	v_add_f16_e32 v164, v24, v23
	v_fma_f16 v23, v52, s19, -v53
	v_add_f16_e32 v121, v28, v38
	v_sub_f16_e32 v125, v28, v38
	v_mul_f16_e32 v53, 0xba95, v127
	v_add_f16_e32 v162, v56, v126
	v_add_f16_e32 v131, v13, v37
	v_mul_f16_e32 v56, 0xba95, v125
	v_fma_f16 v54, v121, s18, v53
	v_add_f16_e32 v63, v12, v54
	v_fma_f16 v54, v131, s18, -v56
	v_mul_f16_e32 v58, 0xbbf1, v127
	v_add_f16_e32 v64, v47, v54
	v_mul_f16_e32 v60, 0xbbf1, v125
	v_fma_f16 v54, v121, s19, v58
	v_add_f16_e32 v111, v12, v54
	v_fma_f16 v54, v131, s19, -v60
	v_mul_f16_e32 v62, 0xbb7b, v127
	v_add_f16_e32 v122, v47, v54
	v_mul_f16_e32 v112, 0xbb7b, v125
	v_fma_f16 v54, v121, s20, v62
	v_add_f16_e32 v165, v23, v14
	v_mul_f16_e32 v14, 0xb770, v127
	v_add_f16_e32 v146, v12, v54
	v_fma_f16 v54, v131, s20, -v112
	v_sub_f16_e32 v132, v15, v36
	v_mul_f16_e32 v52, 0xb770, v125
	v_fma_f16 v23, v121, s16, v14
	v_add_f16_e32 v150, v47, v54
	v_add_f16_e32 v126, v29, v51
	v_sub_f16_e32 v130, v29, v51
	v_mul_f16_e32 v54, 0xba95, v132
	v_add_f16_e32 v23, v12, v23
	v_fma_f16 v24, v131, s16, -v52
	v_add_f16_e32 v136, v15, v36
	v_mul_f16_e32 v57, 0xba95, v130
	v_fma_f16 v59, v126, s18, v54
	v_add_f16_e32 v24, v47, v24
	v_add_f16_e32 v158, v59, v23
	v_fma_f16 v23, v136, s18, -v57
	v_mul_f16_e32 v59, 0xbb7b, v132
	v_mul_f16_e32 v61, 0xbb7b, v130
	v_add_f16_e32 v166, v23, v24
	v_fma_f16 v23, v126, s20, v59
	v_fma_f16 v24, v136, s20, -v61
	v_mul_f16_e32 v120, 0xb3a8, v130
	v_add_f16_e32 v23, v23, v63
	v_add_f16_e32 v167, v24, v64
	v_mul_f16_e32 v63, 0xb3a8, v132
	v_fma_f16 v64, v136, s22, -v120
	v_sub_f16_e32 v137, v16, v34
	v_fma_f16 v24, v126, s22, v63
	v_add_f16_e32 v169, v64, v122
	v_add_f16_e32 v133, v30, v50
	v_mul_f16_e32 v64, 0xb3a8, v137
	v_add_f16_e32 v24, v24, v111
	v_fma_f16 v111, v133, s22, v64
	v_mul_f16_e32 v123, 0x3b7b, v137
	v_sub_f16_e32 v140, v17, v26
	v_add_f16_e32 v23, v111, v23
	v_fma_f16 v111, v133, s20, v123
	v_add_f16_e32 v138, v31, v49
	v_mul_f16_e32 v124, 0x394e, v140
	v_add_f16_e32 v24, v111, v24
	v_fma_f16 v111, v138, s21, v124
	v_mul_f16_e32 v128, 0x3770, v140
	v_sub_f16_e32 v144, v18, v25
	v_add_f16_e32 v23, v111, v23
	v_fma_f16 v111, v138, s16, v128
	;; [unrolled: 8-line block ×3, first 2 shown]
	v_add_f16_e32 v145, v33, v35
	v_mul_f16_e32 v135, 0x3770, v148
	v_add_f16_e32 v111, v111, v24
	v_fma_f16 v24, v145, s16, v135
	v_mul_f16_e32 v139, 0xb94e, v148
	v_mul_f16_e32 v122, 0x394e, v132
	v_add_f16_e32 v24, v24, v23
	v_fma_f16 v23, v145, s21, v139
	v_add_f16_e32 v23, v23, v111
	v_mul_f16_e32 v143, 0x394e, v130
	v_fma_f16 v111, v126, s21, v122
	v_add_f16_e32 v170, v111, v146
	v_fma_f16 v111, v136, s21, -v143
	v_add_f16_e32 v171, v111, v150
	v_lshrrev_b32_e32 v111, 2, v86
	v_mul_u32_u24_e32 v111, 52, v111
	v_mul_f16_e32 v146, 0xb94e, v127
	v_or_b32_e32 v111, v111, v89
	v_pack_b32_f16 v44, v44, v55
	v_fma_f16 v55, v121, s21, v146
	v_pack_b32_f16 v142, v142, v147
	v_lshlrev_b32_e32 v111, 2, v111
	v_mul_f16_e32 v150, 0x3bf1, v132
	v_add_f16_e32 v55, v12, v55
	ds_write2_b32 v111, v44, v142 offset1:4
	v_fma_f16 v44, v126, s19, v150
	v_mul_f16_e32 v153, 0xb94e, v125
	v_add_f16_e32 v44, v44, v55
	v_fma_f16 v55, v131, s21, -v153
	v_mul_f16_e32 v154, 0x3bf1, v130
	v_add_f16_e32 v55, v47, v55
	v_fma_f16 v142, v136, s19, -v154
	v_add_f16_e32 v147, v142, v55
	v_pack_b32_f16 v55, v149, v117
	v_pack_b32_f16 v113, v113, v151
	ds_write2_b32 v111, v55, v113 offset0:8 offset1:12
	v_mul_f16_e32 v55, 0xbbf1, v137
	v_sub_f16_e32 v161, v30, v50
	v_fma_f16 v113, v133, s19, v55
	v_add_f16_e32 v168, v16, v34
	v_pack_b32_f16 v114, v114, v152
	v_pack_b32_f16 v118, v118, v156
	v_mul_f16_e32 v152, 0x3b7b, v161
	v_mul_f16_e32 v156, 0x3770, v137
	v_add_f16_e32 v113, v113, v158
	ds_write2_b32 v111, v114, v118 offset0:16 offset1:20
	v_fma_f16 v118, v168, s20, -v152
	v_fma_f16 v151, v133, s16, v156
	v_mul_f16_e32 v158, 0x3770, v161
	v_mul_f16_e32 v142, 0xbbf1, v161
	v_add_f16_e32 v118, v118, v169
	v_add_f16_e32 v169, v151, v170
	v_fma_f16 v151, v168, s16, -v158
	v_fma_f16 v117, v168, s19, -v142
	v_add_f16_e32 v170, v151, v171
	v_pack_b32_f16 v151, v157, v162
	v_pack_b32_f16 v157, v164, v165
	v_mul_f16_e32 v164, 0xba95, v137
	v_add_f16_e32 v117, v117, v166
	ds_write2_b32 v111, v151, v157 offset0:24 offset1:28
	v_fma_f16 v151, v133, s18, v164
	v_mul_f16_e32 v166, 0xba95, v161
	v_add_f16_e32 v44, v151, v44
	v_fma_f16 v151, v168, s18, -v166
	v_mul_f16_e32 v149, 0xb3a8, v161
	v_add_f16_e32 v165, v151, v147
	v_mul_f16_e32 v147, 0xbb7b, v140
	v_sub_f16_e32 v175, v31, v49
	v_fma_f16 v114, v168, s22, -v149
	v_fma_f16 v151, v138, s20, v147
	v_add_f16_e32 v180, v17, v26
	v_mul_f16_e32 v157, 0x394e, v175
	v_add_f16_e32 v114, v114, v167
	v_add_f16_e32 v113, v151, v113
	v_pack_b32_f16 v116, v116, v119
	v_pack_b32_f16 v110, v110, v115
	v_mul_f16_e32 v151, 0xbb7b, v175
	v_fma_f16 v115, v180, s21, -v157
	v_mul_f16_e32 v162, 0x3770, v175
	ds_write2_b32 v111, v116, v110 offset0:32 offset1:36
	v_fma_f16 v110, v180, s20, -v151
	v_add_f16_e32 v114, v115, v114
	v_fma_f16 v115, v180, s16, -v162
	v_mul_f16_e32 v173, 0x33a8, v140
	v_add_f16_e32 v110, v110, v117
	v_add_f16_e32 v115, v115, v118
	v_pack_b32_f16 v117, v155, v159
	v_fma_f16 v118, v138, s22, v173
	v_mul_f16_e32 v177, 0x33a8, v175
	v_mul_f16_e32 v155, 0xb94e, v144
	v_sub_f16_e32 v183, v32, v48
	v_pack_b32_f16 v116, v160, v163
	v_mul_f16_e32 v171, 0xbbf1, v175
	v_add_f16_e32 v44, v118, v44
	v_fma_f16 v118, v180, s22, -v177
	v_fma_f16 v119, v141, s21, v155
	v_add_f16_e32 v187, v18, v25
	v_mul_f16_e32 v159, 0xb94e, v183
	ds_write2_b32 v111, v116, v117 offset0:40 offset1:44
	v_fma_f16 v117, v180, s19, -v171
	v_add_f16_e32 v118, v118, v165
	v_add_f16_e32 v113, v119, v113
	v_fma_f16 v119, v187, s21, -v159
	v_mul_f16_e32 v165, 0x3bf1, v183
	v_mul_f16_e32 v167, 0xbbf1, v140
	v_add_f16_e32 v117, v117, v170
	v_add_f16_e32 v110, v119, v110
	v_fma_f16 v119, v187, s19, -v165
	v_mul_f16_e32 v170, 0xba95, v183
	v_fma_f16 v116, v138, s19, v167
	v_add_f16_e32 v114, v119, v114
	v_fma_f16 v119, v187, s18, -v170
	v_mul_f16_e32 v172, 0x33a8, v144
	v_add_f16_e32 v116, v116, v169
	v_add_f16_e32 v119, v119, v115
	v_fma_f16 v115, v141, s22, v172
	v_mul_f16_e32 v176, 0x33a8, v183
	v_add_f16_e32 v190, v115, v116
	v_fma_f16 v115, v187, s22, -v176
	v_mul_f16_e32 v178, 0x3770, v144
	v_add_f16_e32 v184, v115, v117
	v_fma_f16 v115, v141, s16, v178
	v_mul_f16_e32 v181, 0x3770, v183
	v_add_f16_e32 v44, v115, v44
	v_fma_f16 v115, v187, s16, -v181
	v_mul_f16_e32 v160, 0xb3a8, v148
	v_sub_f16_e32 v186, v33, v35
	v_add_f16_e32 v191, v115, v118
	v_fma_f16 v115, v145, s22, v160
	v_add_f16_e32 v188, v19, v27
	v_mul_f16_e32 v163, 0xb3a8, v186
	v_add_f16_e32 v116, v115, v113
	v_fma_f16 v113, v188, s22, -v163
	v_mul_f16_e32 v169, 0x3770, v186
	v_add_f16_e32 v117, v113, v110
	v_fma_f16 v110, v188, s16, -v169
	;; [unrolled: 3-line block ×4, first 2 shown]
	v_add_f16_e32 v113, v110, v184
	v_mul_f16_e32 v184, 0xbb7b, v148
	v_fma_f16 v110, v145, s20, v184
	v_mul_f16_e32 v185, 0xbb7b, v186
	v_add_f16_e32 v118, v110, v44
	v_fma_f16 v44, v188, s20, -v185
	v_add_f16_e32 v119, v44, v191
	v_pack_b32_f16 v44, v182, v189
	v_mul_f16_e32 v182, 0x3a95, v148
	ds_write_b32 v111, v44 offset:192
	v_fma_f16 v44, v145, s18, v182
	v_add_f16_e32 v44, v44, v190
	v_lshrrev_b32_e32 v110, 2, v46
	s_and_saveexec_b64 s[14:15], s[2:3]
	s_cbranch_execz .LBB0_15
; %bb.14:
	v_mul_f16_e32 v189, 0x3b15, v131
	v_mul_f16_e32 v191, 0x388b, v131
	;; [unrolled: 1-line block ×11, first 2 shown]
	v_fma_f16 v248, v125, s35, v131
	v_mul_f16_e32 v136, 0x3b15, v136
	v_mul_f16_e32 v209, 0x2fb7, v168
	v_mul_f16_e32 v211, 0xbbc4, v168
	v_mul_f16_e32 v213, 0xb5ac, v168
	v_mul_f16_e32 v215, 0x3b15, v168
	v_mul_f16_e32 v217, 0x388b, v168
	v_add_f16_e32 v248, v47, v248
	v_fma_f16 v249, v130, s31, v136
	v_mul_f16_e32 v168, 0xb9fd, v168
	v_mul_f16_e32 v219, 0xb5ac, v180
	v_mul_f16_e32 v221, 0xb9fd, v180
	v_mul_f16_e32 v223, 0x3b15, v180
	v_mul_f16_e32 v225, 0x2fb7, v180
	v_mul_f16_e32 v227, 0xbbc4, v180
	v_add_f16_e32 v248, v249, v248
	;; [unrolled: 8-line block ×4, first 2 shown]
	v_fma_f16 v249, v183, s33, v187
	v_mul_f16_e32 v188, 0x2fb7, v188
	v_add_f16_e32 v248, v249, v248
	v_fma_f16 v249, v186, s29, v188
	v_mul_f16_e32 v127, 0xb3a8, v127
	v_mul_f16_e32 v46, 0x3b15, v121
	;; [unrolled: 1-line block ×6, first 2 shown]
	v_add_f16_e32 v248, v249, v248
	v_fma_f16 v249, v121, s22, v127
	v_mul_f16_e32 v132, 0x3770, v132
	v_fma_f16 v121, v121, s22, -v127
	v_mul_f16_e32 v198, 0x388b, v126
	v_mul_f16_e32 v200, 0xb5ac, v126
	;; [unrolled: 1-line block ×5, first 2 shown]
	v_fma_f16 v250, v126, s16, v132
	v_mul_f16_e32 v137, 0xb94e, v137
	v_add_f16_e32 v121, v12, v121
	v_fma_f16 v126, v126, s16, -v132
	v_mul_f16_e32 v140, 0x3a95, v140
	v_add_f16_e32 v121, v126, v121
	v_fma_f16 v126, v133, s21, -v137
	;; [unrolled: 3-line block ×4, first 2 shown]
	v_add_f16_e32 v121, v126, v121
	v_fma_f16 v126, v145, s19, -v148
	v_add_f16_e32 v121, v126, v121
	v_add_f16_e32 v126, v153, v197
	;; [unrolled: 1-line block ×8, first 2 shown]
	v_fma_f16 v125, v125, s26, v131
	v_add_f16_e32 v126, v127, v126
	v_add_f16_e32 v127, v181, v237
	;; [unrolled: 1-line block ×3, first 2 shown]
	v_fma_f16 v130, v130, s28, v136
	v_add_f16_e32 v126, v127, v126
	v_add_f16_e32 v127, v185, v247
	;; [unrolled: 1-line block ×3, first 2 shown]
	v_fma_f16 v130, v161, s25, v168
	v_add_f16_e32 v126, v127, v126
	v_sub_f16_e32 v127, v196, v146
	v_sub_f16_e32 v62, v194, v62
	;; [unrolled: 1-line block ×5, first 2 shown]
	v_add_f16_e32 v249, v12, v249
	v_add_f16_e32 v125, v130, v125
	v_fma_f16 v130, v175, s27, v180
	v_add_f16_e32 v127, v12, v127
	v_add_f16_e32 v62, v12, v62
	;; [unrolled: 1-line block ×8, first 2 shown]
	v_fma_f16 v130, v183, s23, v187
	v_add_f16_e32 v12, v12, v29
	v_add_f16_e32 v13, v13, v15
	;; [unrolled: 1-line block ×3, first 2 shown]
	v_fma_f16 v130, v186, s24, v188
	v_add_f16_e32 v12, v12, v30
	v_add_f16_e32 v13, v13, v16
	v_mul_f16_e32 v216, 0x388b, v133
	v_add_f16_e32 v125, v130, v125
	v_sub_f16_e32 v130, v206, v150
	v_add_f16_e32 v12, v12, v31
	v_add_f16_e32 v13, v13, v17
	v_mul_f16_e32 v226, 0xbbc4, v138
	v_add_f16_e32 v127, v130, v127
	v_sub_f16_e32 v130, v216, v164
	;; [unrolled: 5-line block ×3, first 2 shown]
	v_add_f16_e32 v52, v52, v189
	v_add_f16_e32 v12, v12, v33
	;; [unrolled: 1-line block ×3, first 2 shown]
	v_mul_f16_e32 v208, 0x2fb7, v133
	v_mul_f16_e32 v246, 0xb5ac, v145
	v_add_f16_e32 v127, v130, v127
	v_sub_f16_e32 v130, v236, v178
	v_add_f16_e32 v60, v60, v193
	v_add_f16_e32 v56, v56, v191
	;; [unrolled: 1-line block ×4, first 2 shown]
	v_sub_f16_e32 v46, v198, v54
	v_add_f16_e32 v12, v12, v35
	v_add_f16_e32 v13, v13, v27
	v_mul_f16_e32 v210, 0xbbc4, v133
	v_mul_f16_e32 v212, 0xb5ac, v133
	;; [unrolled: 1-line block ×3, first 2 shown]
	v_add_f16_e32 v127, v130, v127
	v_sub_f16_e32 v130, v246, v184
	v_add_f16_e32 v112, v112, v195
	v_add_f16_e32 v60, v47, v60
	;; [unrolled: 1-line block ×3, first 2 shown]
	v_sub_f16_e32 v63, v202, v63
	v_add_f16_e32 v56, v47, v56
	v_add_f16_e32 v61, v61, v201
	v_sub_f16_e32 v59, v200, v59
	v_add_f16_e32 v52, v57, v52
	v_add_f16_e32 v57, v142, v209
	;; [unrolled: 1-line block ×3, first 2 shown]
	v_sub_f16_e32 v46, v208, v55
	v_add_f16_e32 v12, v12, v48
	v_add_f16_e32 v13, v13, v25
	v_mul_f16_e32 v214, 0x3b15, v133
	v_mul_f16_e32 v220, 0xb9fd, v138
	;; [unrolled: 1-line block ×4, first 2 shown]
	v_add_f16_e32 v127, v130, v127
	v_add_f16_e32 v112, v47, v112
	v_add_f16_e32 v130, v143, v205
	v_sub_f16_e32 v122, v204, v122
	v_add_f16_e32 v60, v120, v60
	v_add_f16_e32 v120, v152, v213
	v_add_f16_e32 v58, v63, v58
	v_sub_f16_e32 v63, v212, v123
	;; [unrolled: 4-line block ×4, first 2 shown]
	v_add_f16_e32 v12, v12, v49
	v_add_f16_e32 v13, v13, v26
	v_mul_f16_e32 v224, 0x2fb7, v138
	v_mul_f16_e32 v230, 0x2fb7, v141
	;; [unrolled: 1-line block ×4, first 2 shown]
	v_add_f16_e32 v112, v130, v112
	v_add_f16_e32 v130, v158, v215
	v_add_f16_e32 v62, v122, v62
	v_sub_f16_e32 v122, v214, v156
	v_add_f16_e32 v60, v120, v60
	v_add_f16_e32 v120, v162, v223
	v_add_f16_e32 v58, v63, v58
	v_sub_f16_e32 v63, v222, v128
	;; [unrolled: 4-line block ×4, first 2 shown]
	v_add_f16_e32 v12, v12, v50
	v_add_f16_e32 v13, v13, v34
	v_mul_f16_e32 v234, 0xbbc4, v141
	v_mul_f16_e32 v240, 0x3b15, v145
	;; [unrolled: 1-line block ×3, first 2 shown]
	v_add_f16_e32 v249, v250, v249
	v_fma_f16 v250, v133, s21, v137
	v_add_f16_e32 v112, v130, v112
	v_add_f16_e32 v130, v171, v225
	v_add_f16_e32 v62, v122, v62
	v_sub_f16_e32 v122, v224, v167
	v_add_f16_e32 v60, v120, v60
	v_add_f16_e32 v120, v170, v233
	v_add_f16_e32 v58, v63, v58
	v_sub_f16_e32 v63, v232, v134
	;; [unrolled: 4-line block ×4, first 2 shown]
	v_add_f16_e32 v12, v12, v51
	v_add_f16_e32 v13, v13, v36
	v_mul_u32_u24_e32 v15, 52, v110
	v_mul_f16_e32 v244, 0x388b, v145
	v_add_f16_e32 v249, v250, v249
	v_fma_f16 v250, v138, s18, v140
	v_add_f16_e32 v112, v130, v112
	v_add_f16_e32 v130, v176, v235
	v_add_f16_e32 v62, v122, v62
	v_sub_f16_e32 v122, v234, v172
	v_add_f16_e32 v60, v120, v60
	v_add_f16_e32 v120, v174, v243
	v_add_f16_e32 v58, v63, v58
	v_sub_f16_e32 v63, v242, v139
	;; [unrolled: 4-line block ×3, first 2 shown]
	v_add_f16_e32 v52, v57, v52
	v_add_f16_e32 v14, v46, v14
	;; [unrolled: 1-line block ×4, first 2 shown]
	v_or_b32_e32 v15, v15, v89
	v_add_f16_e32 v249, v250, v249
	v_fma_f16 v250, v141, s20, v144
	v_add_f16_e32 v112, v130, v112
	v_add_f16_e32 v130, v179, v245
	;; [unrolled: 1-line block ×3, first 2 shown]
	v_sub_f16_e32 v122, v244, v182
	v_add_f16_e32 v60, v120, v60
	v_add_f16_e32 v58, v63, v58
	;; [unrolled: 1-line block ×4, first 2 shown]
	v_lshlrev_b32_e32 v15, 2, v15
	v_pack_b32_f16 v12, v12, v13
	v_pack_b32_f16 v13, v14, v52
	v_add_f16_e32 v249, v250, v249
	v_fma_f16 v250, v145, s19, v148
	v_add_f16_e32 v112, v130, v112
	v_add_f16_e32 v62, v122, v62
	ds_write2_b32 v15, v12, v13 offset1:4
	v_pack_b32_f16 v12, v53, v56
	v_pack_b32_f16 v13, v58, v60
	v_add_f16_e32 v249, v250, v249
	ds_write2_b32 v15, v12, v13 offset0:8 offset1:12
	v_pack_b32_f16 v12, v62, v112
	v_pack_b32_f16 v13, v127, v126
	ds_write2_b32 v15, v12, v13 offset0:16 offset1:20
	v_pack_b32_f16 v12, v121, v125
	v_pack_b32_f16 v13, v249, v248
	s_mov_b32 s16, 0x5040100
	ds_write2_b32 v15, v12, v13 offset0:24 offset1:28
	v_perm_b32 v12, v119, v118, s16
	v_perm_b32 v13, v113, v44, s16
	ds_write2_b32 v15, v12, v13 offset0:32 offset1:36
	v_perm_b32 v12, v114, v23, s16
	v_perm_b32 v13, v115, v24, s16
	ds_write2_b32 v15, v12, v13 offset0:40 offset1:44
	v_perm_b32 v12, v117, v116, s16
	ds_write_b32 v15, v12 offset:192
.LBB0_15:
	s_or_b64 exec, exec, s[14:15]
	v_mad_u64_u32 v[16:17], s[14:15], v86, 24, s[4:5]
	s_movk_i32 s14, 0x4f
	s_waitcnt lgkmcnt(0)
	; wave barrier
	s_waitcnt lgkmcnt(0)
	global_load_dwordx4 v[12:15], v[16:17], off offset:200
	global_load_dwordx2 v[25:26], v[16:17], off offset:216
	v_mul_lo_u16_sdwa v16, v45, s14 dst_sel:DWORD dst_unused:UNUSED_PAD src0_sel:BYTE_0 src1_sel:DWORD
	v_lshrrev_b16_e32 v16, 12, v16
	v_mul_lo_u16_e32 v16, 52, v16
	v_sub_u16_e32 v16, v45, v16
	v_and_b32_e32 v58, 0xff, v16
	v_mad_u64_u32 v[27:28], s[14:15], v58, 24, s[4:5]
	ds_read2_b32 v[29:30], v67 offset1:52
	ds_read2_b32 v[31:32], v67 offset0:104 offset1:156
	global_load_dwordx4 v[16:19], v[27:28], off offset:200
	v_add_u32_e32 v63, 0x400, v67
	v_add_u32_e32 v47, 0x800, v67
	;; [unrolled: 1-line block ×5, first 2 shown]
	ds_read_b32 v59, v67 offset:4160
	ds_read2_b32 v[33:34], v63 offset0:56 offset1:108
	ds_read2_b32 v[35:36], v63 offset0:160 offset1:212
	;; [unrolled: 1-line block ×8, first 2 shown]
	global_load_dwordx2 v[27:28], v[27:28], off offset:216
	s_waitcnt lgkmcnt(9)
	v_lshrrev_b32_e32 v60, 16, v32
	s_waitcnt lgkmcnt(5)
	v_lshrrev_b32_e32 v126, 16, v38
	;; [unrolled: 2-line block ×4, first 2 shown]
	v_lshrrev_b32_e32 v129, 16, v53
	v_lshrrev_b32_e32 v130, 16, v35
	v_lshrrev_b32_e32 v131, 16, v55
	v_lshrrev_b32_e32 v132, 16, v45
	v_lshrrev_b32_e32 v133, 16, v57
	v_lshrrev_b32_e32 v61, 16, v59
	v_lshrrev_b32_e32 v62, 16, v33
	v_lshrrev_b32_e32 v121, 16, v46
	v_lshrrev_b32_e32 v122, 16, v50
	v_lshrrev_b32_e32 v112, 16, v36
	v_lshrrev_b32_e32 v120, 16, v37
	v_lshrrev_b32_e32 v123, 16, v52
	v_lshrrev_b32_e32 v124, 16, v34
	s_movk_i32 s14, 0x2b26
	s_movk_i32 s15, 0x3b00
	s_mov_b32 s16, 0xbcab
	s_movk_i32 s18, 0x39e0
	s_mov_b32 s19, 0xb9e0
	s_movk_i32 s20, 0x3574
	s_mov_b32 s21, 0xb574
	v_lshrrev_b32_e32 v125, 16, v54
	s_movk_i32 s22, 0x370e
	s_waitcnt lgkmcnt(0)
	; wave barrier
	s_waitcnt vmcnt(3)
	v_mul_f16_sdwa v134, v60, v12 dst_sel:DWORD dst_unused:UNUSED_PAD src0_sel:DWORD src1_sel:WORD_1
	v_mul_f16_sdwa v135, v32, v12 dst_sel:DWORD dst_unused:UNUSED_PAD src0_sel:DWORD src1_sel:WORD_1
	v_fma_f16 v32, v32, v12, -v134
	v_mul_f16_sdwa v134, v126, v15 dst_sel:DWORD dst_unused:UNUSED_PAD src0_sel:DWORD src1_sel:WORD_1
	v_fma_f16 v134, v38, v15, -v134
	v_mul_f16_sdwa v38, v38, v15 dst_sel:DWORD dst_unused:UNUSED_PAD src0_sel:DWORD src1_sel:WORD_1
	v_fma_f16 v38, v126, v15, v38
	s_waitcnt vmcnt(2)
	v_mul_f16_sdwa v126, v127, v25 dst_sel:DWORD dst_unused:UNUSED_PAD src0_sel:DWORD src1_sel:WORD_1
	v_fma_f16 v126, v56, v25, -v126
	v_mul_f16_sdwa v56, v56, v25 dst_sel:DWORD dst_unused:UNUSED_PAD src0_sel:DWORD src1_sel:WORD_1
	v_fma_f16 v56, v127, v25, v56
	v_mul_f16_sdwa v127, v128, v26 dst_sel:DWORD dst_unused:UNUSED_PAD src0_sel:DWORD src1_sel:WORD_1
	v_fma_f16 v127, v51, v26, -v127
	v_mul_f16_sdwa v51, v51, v26 dst_sel:DWORD dst_unused:UNUSED_PAD src0_sel:DWORD src1_sel:WORD_1
	v_fma_f16 v51, v128, v26, v51
	s_waitcnt vmcnt(1)
	v_mul_f16_sdwa v128, v129, v16 dst_sel:DWORD dst_unused:UNUSED_PAD src0_sel:DWORD src1_sel:WORD_1
	v_fma_f16 v128, v53, v16, -v128
	v_mul_f16_sdwa v53, v53, v16 dst_sel:DWORD dst_unused:UNUSED_PAD src0_sel:DWORD src1_sel:WORD_1
	v_fma_f16 v53, v129, v16, v53
	v_mul_f16_sdwa v129, v130, v17 dst_sel:DWORD dst_unused:UNUSED_PAD src0_sel:DWORD src1_sel:WORD_1
	v_fma_f16 v129, v35, v17, -v129
	v_mul_f16_sdwa v35, v35, v17 dst_sel:DWORD dst_unused:UNUSED_PAD src0_sel:DWORD src1_sel:WORD_1
	v_fma_f16 v35, v130, v17, v35
	;; [unrolled: 4-line block ×4, first 2 shown]
	s_waitcnt vmcnt(0)
	v_mul_f16_sdwa v132, v133, v27 dst_sel:DWORD dst_unused:UNUSED_PAD src0_sel:DWORD src1_sel:WORD_1
	v_fma_f16 v132, v57, v27, -v132
	v_mul_f16_sdwa v57, v57, v27 dst_sel:DWORD dst_unused:UNUSED_PAD src0_sel:DWORD src1_sel:WORD_1
	v_mul_f16_sdwa v136, v62, v13 dst_sel:DWORD dst_unused:UNUSED_PAD src0_sel:DWORD src1_sel:WORD_1
	;; [unrolled: 1-line block ×7, first 2 shown]
	v_fma_f16 v57, v133, v27, v57
	v_mul_f16_sdwa v133, v61, v28 dst_sel:DWORD dst_unused:UNUSED_PAD src0_sel:DWORD src1_sel:WORD_1
	v_mul_f16_sdwa v138, v112, v14 dst_sel:DWORD dst_unused:UNUSED_PAD src0_sel:DWORD src1_sel:WORD_1
	;; [unrolled: 1-line block ×5, first 2 shown]
	v_fma_f16 v60, v60, v12, v135
	v_fma_f16 v33, v33, v13, -v136
	v_fma_f16 v62, v62, v13, v137
	v_fma_f16 v46, v46, v25, -v142
	v_fma_f16 v121, v121, v25, v143
	v_fma_f16 v50, v50, v26, -v144
	v_fma_f16 v122, v122, v26, v145
	v_fma_f16 v133, v59, v28, -v133
	v_mul_f16_sdwa v59, v59, v28 dst_sel:DWORD dst_unused:UNUSED_PAD src0_sel:DWORD src1_sel:WORD_1
	v_fma_f16 v36, v36, v14, -v138
	v_fma_f16 v112, v112, v14, v139
	v_fma_f16 v37, v37, v15, -v140
	v_fma_f16 v120, v120, v15, v141
	v_fma_f16 v59, v61, v28, v59
	v_add_f16_e32 v61, v32, v50
	v_add_f16_e32 v135, v60, v122
	v_sub_f16_e32 v32, v32, v50
	v_sub_f16_e32 v50, v60, v122
	v_add_f16_e32 v60, v33, v46
	v_add_f16_e32 v122, v62, v121
	v_sub_f16_e32 v33, v33, v46
	v_sub_f16_e32 v46, v62, v121
	;; [unrolled: 4-line block ×4, first 2 shown]
	v_sub_f16_e32 v61, v61, v62
	v_sub_f16_e32 v135, v135, v121
	;; [unrolled: 1-line block ×4, first 2 shown]
	v_add_f16_e32 v138, v36, v33
	v_add_f16_e32 v139, v37, v46
	v_sub_f16_e32 v140, v36, v33
	v_sub_f16_e32 v141, v37, v46
	;; [unrolled: 1-line block ×4, first 2 shown]
	v_add_f16_e32 v62, v62, v112
	v_add_f16_e32 v112, v121, v120
	v_sub_f16_e32 v36, v32, v36
	v_sub_f16_e32 v37, v50, v37
	v_add_f16_e32 v32, v138, v32
	v_add_f16_e32 v50, v139, v50
	;; [unrolled: 1-line block ×3, first 2 shown]
	v_add_f16_sdwa v29, v29, v112 dst_sel:DWORD dst_unused:UNUSED_PAD src0_sel:WORD_1 src1_sel:DWORD
	v_mul_f16_e32 v61, 0x3a52, v61
	v_mul_f16_e32 v121, 0x3a52, v135
	;; [unrolled: 1-line block ×8, first 2 shown]
	v_mul_f16_sdwa v146, v123, v12 dst_sel:DWORD dst_unused:UNUSED_PAD src0_sel:DWORD src1_sel:WORD_1
	v_mul_f16_sdwa v147, v52, v12 dst_sel:DWORD dst_unused:UNUSED_PAD src0_sel:DWORD src1_sel:WORD_1
	;; [unrolled: 1-line block ×4, first 2 shown]
	v_fma_f16 v62, v62, s16, v120
	v_fma_f16 v112, v112, s16, v29
	;; [unrolled: 1-line block ×4, first 2 shown]
	v_fma_f16 v135, v136, s18, -v135
	v_fma_f16 v138, v137, s18, -v138
	;; [unrolled: 1-line block ×4, first 2 shown]
	v_fma_f16 v136, v36, s20, v139
	v_fma_f16 v137, v37, s20, v140
	v_fma_f16 v33, v33, s15, -v139
	v_fma_f16 v36, v36, s21, -v141
	;; [unrolled: 1-line block ×3, first 2 shown]
	v_mul_f16_sdwa v150, v125, v14 dst_sel:DWORD dst_unused:UNUSED_PAD src0_sel:DWORD src1_sel:WORD_1
	v_mul_f16_sdwa v151, v54, v14 dst_sel:DWORD dst_unused:UNUSED_PAD src0_sel:DWORD src1_sel:WORD_1
	v_fma_f16 v52, v52, v12, -v146
	v_fma_f16 v123, v123, v12, v147
	v_fma_f16 v34, v34, v13, -v148
	v_fma_f16 v124, v124, v13, v149
	v_fma_f16 v46, v46, s15, -v140
	v_add_f16_e32 v60, v60, v62
	v_add_f16_e32 v122, v122, v112
	;; [unrolled: 1-line block ×6, first 2 shown]
	v_fma_f16 v112, v32, s22, v136
	v_fma_f16 v121, v50, s22, v137
	;; [unrolled: 1-line block ×5, first 2 shown]
	v_fma_f16 v54, v54, v14, -v150
	v_fma_f16 v125, v125, v14, v151
	v_fma_f16 v46, v50, s22, v46
	v_add_f16_e32 v37, v121, v60
	v_sub_f16_e32 v50, v122, v112
	v_add_f16_e32 v136, v36, v61
	v_sub_f16_e32 v137, v62, v32
	v_sub_f16_e32 v36, v61, v36
	v_add_f16_e32 v32, v32, v62
	v_sub_f16_e32 v60, v60, v121
	v_add_f16_e32 v61, v112, v122
	v_add_f16_e32 v62, v52, v127
	;; [unrolled: 1-line block ×5, first 2 shown]
	v_sub_f16_e32 v52, v52, v127
	v_sub_f16_e32 v51, v123, v51
	v_sub_f16_e32 v34, v34, v126
	v_sub_f16_e32 v56, v124, v56
	v_add_f16_e32 v123, v54, v134
	v_add_f16_e32 v124, v125, v38
	v_sub_f16_e32 v54, v134, v54
	v_sub_f16_e32 v38, v38, v125
	v_add_f16_e32 v125, v121, v62
	v_add_f16_e32 v126, v122, v112
	v_sub_f16_e32 v139, v135, v46
	v_add_f16_e32 v140, v33, v138
	v_add_f16_e32 v46, v46, v135
	v_sub_f16_e32 v33, v138, v33
	v_sub_f16_e32 v127, v121, v62
	;; [unrolled: 1-line block ×7, first 2 shown]
	v_add_f16_e32 v135, v54, v34
	v_add_f16_e32 v138, v38, v56
	v_sub_f16_e32 v141, v54, v34
	v_sub_f16_e32 v142, v38, v56
	;; [unrolled: 1-line block ×4, first 2 shown]
	v_add_f16_e32 v123, v123, v125
	v_add_f16_e32 v124, v124, v126
	v_sub_f16_e32 v54, v52, v54
	v_sub_f16_e32 v38, v51, v38
	v_add_f16_e32 v52, v135, v52
	v_add_f16_e32 v51, v138, v51
	;; [unrolled: 1-line block ×3, first 2 shown]
	v_add_f16_sdwa v30, v30, v124 dst_sel:DWORD dst_unused:UNUSED_PAD src0_sel:WORD_1 src1_sel:DWORD
	v_mul_f16_e32 v62, 0x3a52, v62
	v_mul_f16_e32 v112, 0x3a52, v112
	;; [unrolled: 1-line block ×8, first 2 shown]
	v_fma_f16 v123, v123, s16, v125
	v_fma_f16 v124, v124, s16, v30
	;; [unrolled: 1-line block ×4, first 2 shown]
	v_fma_f16 v126, v127, s18, -v126
	v_fma_f16 v135, v134, s18, -v135
	;; [unrolled: 1-line block ×4, first 2 shown]
	v_fma_f16 v127, v54, s20, v138
	v_fma_f16 v134, v38, s20, v141
	v_fma_f16 v34, v34, s15, -v138
	v_fma_f16 v54, v54, s21, -v142
	;; [unrolled: 1-line block ×4, first 2 shown]
	v_add_f16_e32 v121, v121, v123
	v_add_f16_e32 v122, v122, v124
	;; [unrolled: 1-line block ×6, first 2 shown]
	v_fma_f16 v123, v52, s22, v127
	v_fma_f16 v124, v51, s22, v134
	;; [unrolled: 1-line block ×6, first 2 shown]
	v_add_f16_e32 v51, v124, v121
	v_sub_f16_e32 v54, v122, v123
	v_add_f16_e32 v127, v38, v62
	v_sub_f16_e32 v134, v112, v52
	v_sub_f16_e32 v38, v62, v38
	v_add_f16_e32 v52, v52, v112
	v_sub_f16_e32 v62, v121, v124
	v_add_f16_e32 v112, v123, v122
	v_add_f16_e32 v121, v128, v133
	;; [unrolled: 1-line block ×3, first 2 shown]
	v_sub_f16_e32 v53, v53, v59
	v_add_f16_e32 v59, v129, v132
	v_add_f16_e32 v124, v35, v57
	v_pack_b32_f16 v29, v120, v29
	v_pack_b32_f16 v37, v37, v50
	v_sub_f16_e32 v138, v126, v56
	v_add_f16_e32 v56, v56, v126
	v_sub_f16_e32 v123, v128, v133
	v_sub_f16_e32 v126, v129, v132
	;; [unrolled: 1-line block ×3, first 2 shown]
	v_add_f16_e32 v57, v130, v131
	v_add_f16_e32 v128, v55, v45
	v_sub_f16_e32 v129, v131, v130
	v_sub_f16_e32 v45, v45, v55
	v_add_f16_e32 v55, v59, v121
	v_add_f16_e32 v130, v124, v122
	ds_write2_b32 v67, v29, v37 offset1:52
	v_pack_b32_f16 v29, v136, v137
	v_pack_b32_f16 v37, v139, v140
	v_add_f16_e32 v141, v34, v135
	v_sub_f16_e32 v34, v135, v34
	v_sub_f16_e32 v131, v59, v121
	;; [unrolled: 1-line block ×7, first 2 shown]
	v_add_f16_e32 v133, v129, v126
	v_add_f16_e32 v135, v45, v35
	v_sub_f16_e32 v142, v129, v126
	v_sub_f16_e32 v143, v45, v35
	v_add_f16_e32 v55, v57, v55
	v_add_f16_e32 v57, v128, v130
	ds_write2_b32 v67, v29, v37 offset0:104 offset1:156
	v_pack_b32_f16 v29, v46, v33
	v_pack_b32_f16 v32, v36, v32
	v_sub_f16_e32 v129, v123, v129
	v_sub_f16_e32 v45, v53, v45
	;; [unrolled: 1-line block ×4, first 2 shown]
	v_add_f16_e32 v123, v133, v123
	v_add_f16_e32 v53, v135, v53
	;; [unrolled: 1-line block ×3, first 2 shown]
	v_add_f16_sdwa v31, v31, v57 dst_sel:DWORD dst_unused:UNUSED_PAD src0_sel:WORD_1 src1_sel:DWORD
	v_mul_f16_e32 v121, 0x3a52, v121
	v_mul_f16_e32 v122, 0x3a52, v122
	;; [unrolled: 1-line block ×6, first 2 shown]
	ds_write2_b32 v49, v29, v32 offset0:80 offset1:132
	v_pack_b32_f16 v29, v60, v61
	v_pack_b32_f16 v30, v125, v30
	v_mul_f16_e32 v143, 0x3b00, v126
	v_mul_f16_e32 v144, 0x3b00, v35
	v_fma_f16 v55, v55, s16, v128
	v_fma_f16 v57, v57, s16, v31
	;; [unrolled: 1-line block ×4, first 2 shown]
	v_fma_f16 v130, v131, s18, -v130
	v_fma_f16 v133, v132, s18, -v133
	;; [unrolled: 1-line block ×4, first 2 shown]
	v_fma_f16 v131, v129, s20, v135
	v_fma_f16 v132, v45, s20, v142
	ds_write2_b32 v63, v29, v30 offset0:56 offset1:108
	v_pack_b32_f16 v29, v51, v54
	v_pack_b32_f16 v30, v127, v134
	v_fma_f16 v126, v126, s15, -v135
	v_fma_f16 v35, v35, s15, -v142
	;; [unrolled: 1-line block ×4, first 2 shown]
	v_add_f16_e32 v59, v59, v55
	v_add_f16_e32 v124, v124, v57
	;; [unrolled: 1-line block ×6, first 2 shown]
	v_fma_f16 v121, v123, s22, v131
	v_fma_f16 v122, v53, s22, v132
	ds_write2_b32 v63, v29, v30 offset0:160 offset1:212
	v_pack_b32_f16 v29, v138, v141
	v_pack_b32_f16 v30, v56, v34
	v_fma_f16 v126, v123, s22, v126
	v_fma_f16 v35, v53, s22, v35
	;; [unrolled: 1-line block ×4, first 2 shown]
	v_add_f16_e32 v53, v122, v59
	v_sub_f16_e32 v129, v124, v121
	ds_write2_b32 v47, v29, v30 offset0:8 offset1:60
	v_pack_b32_f16 v29, v38, v52
	v_pack_b32_f16 v30, v62, v112
	v_lshlrev_b32_e32 v112, 2, v58
	v_add_f16_e32 v131, v45, v55
	v_sub_f16_e32 v132, v57, v123
	v_sub_f16_e32 v135, v130, v35
	v_add_f16_e32 v142, v126, v133
	ds_write2_b32 v47, v29, v30 offset0:112 offset1:164
	v_pack_b32_f16 v29, v128, v31
	v_pack_b32_f16 v30, v53, v129
	v_add_u32_e32 v31, 0xa00, v112
	v_add_f16_e32 v35, v35, v130
	v_sub_f16_e32 v126, v133, v126
	v_sub_f16_e32 v45, v55, v45
	v_add_f16_e32 v55, v123, v57
	ds_write2_b32 v31, v29, v30 offset0:88 offset1:140
	v_pack_b32_f16 v29, v131, v132
	v_pack_b32_f16 v30, v135, v142
	v_add_u32_e32 v31, 0xc00, v112
	v_sub_f16_e32 v57, v59, v122
	v_add_f16_e32 v59, v121, v124
	ds_write2_b32 v31, v29, v30 offset0:64 offset1:116
	v_pack_b32_f16 v29, v35, v126
	v_pack_b32_f16 v30, v45, v55
	ds_write2_b32 v31, v29, v30 offset0:168 offset1:220
	v_pack_b32_f16 v29, v57, v59
	ds_write_b32 v112, v29 offset:4160
	s_waitcnt lgkmcnt(0)
	; wave barrier
	s_waitcnt lgkmcnt(0)
	global_load_dwordx2 v[29:30], v42, s[4:5] offset:1448
	v_lshlrev_b32_e32 v31, 2, v41
	global_load_dwordx2 v[31:32], v31, s[4:5] offset:1448
	v_lshlrev_b32_e32 v33, 2, v40
	;; [unrolled: 2-line block ×3, first 2 shown]
	global_load_dwordx2 v[35:36], v120, s[4:5] offset:1448
	global_load_dwordx2 v[37:38], v92, s[4:5] offset:1448
	;; [unrolled: 1-line block ×3, first 2 shown]
	ds_read2_b32 v[45:46], v67 offset1:52
	ds_read2_b32 v[50:51], v63 offset0:56 offset1:108
	ds_read2_b32 v[52:53], v48 offset0:88 offset1:140
	global_load_dwordx2 v[41:42], v95, s[4:5] offset:1448
	v_mov_b32_e32 v54, s17
	v_addc_co_u32_e64 v62, vcc, 0, v54, s[6:7]
	ds_read2_b32 v[54:55], v63 offset0:160 offset1:212
	s_waitcnt lgkmcnt(2)
	v_lshrrev_b32_e32 v128, 16, v51
	s_waitcnt lgkmcnt(1)
	v_lshrrev_b32_e32 v129, 16, v52
	ds_read2_b32 v[58:59], v64 offset0:64 offset1:116
	v_lshrrev_b32_e32 v132, 16, v53
	s_waitcnt lgkmcnt(1)
	v_lshrrev_b32_e32 v131, 16, v54
	ds_read2_b32 v[60:61], v47 offset0:8 offset1:60
	;; [unrolled: 4-line block ×4, first 2 shown]
	v_lshrrev_b32_e32 v140, 16, v61
	s_waitcnt lgkmcnt(1)
	v_lshrrev_b32_e32 v141, 16, v123
	ds_read_b32 v143, v67 offset:4160
	v_lshrrev_b32_e32 v145, 16, v124
	s_waitcnt lgkmcnt(1)
	v_lshrrev_b32_e32 v144, 16, v125
	v_lshrrev_b32_e32 v147, 16, v126
	;; [unrolled: 1-line block ×3, first 2 shown]
	s_waitcnt lgkmcnt(0)
	v_lshrrev_b32_e32 v148, 16, v143
	s_movk_i32 s4, 0x3aee
	s_mov_b32 s5, 0xbaee
	ds_read2_b32 v[56:57], v67 offset0:104 offset1:156
	v_lshrrev_b32_e32 v130, 16, v46
	ds_read2_b32 v[121:122], v49 offset0:80 offset1:132
	v_lshrrev_b32_e32 v146, 16, v50
	s_waitcnt lgkmcnt(1)
	v_lshrrev_b32_e32 v133, 16, v56
	v_lshrrev_b32_e32 v136, 16, v57
	s_waitcnt lgkmcnt(0)
	v_lshrrev_b32_e32 v139, 16, v121
	v_lshrrev_b32_e32 v142, 16, v122
	s_waitcnt vmcnt(6)
	v_mul_f16_sdwa v149, v128, v29 dst_sel:DWORD dst_unused:UNUSED_PAD src0_sel:DWORD src1_sel:WORD_1
	v_fma_f16 v149, v51, v29, -v149
	v_mul_f16_sdwa v51, v51, v29 dst_sel:DWORD dst_unused:UNUSED_PAD src0_sel:DWORD src1_sel:WORD_1
	v_fma_f16 v51, v128, v29, v51
	v_mul_f16_sdwa v128, v129, v30 dst_sel:DWORD dst_unused:UNUSED_PAD src0_sel:DWORD src1_sel:WORD_1
	v_fma_f16 v128, v52, v30, -v128
	v_mul_f16_sdwa v52, v52, v30 dst_sel:DWORD dst_unused:UNUSED_PAD src0_sel:DWORD src1_sel:WORD_1
	v_fma_f16 v52, v129, v30, v52
	s_waitcnt vmcnt(5)
	v_mul_f16_sdwa v129, v131, v31 dst_sel:DWORD dst_unused:UNUSED_PAD src0_sel:DWORD src1_sel:WORD_1
	v_fma_f16 v129, v54, v31, -v129
	v_mul_f16_sdwa v54, v54, v31 dst_sel:DWORD dst_unused:UNUSED_PAD src0_sel:DWORD src1_sel:WORD_1
	v_fma_f16 v54, v131, v31, v54
	v_mul_f16_sdwa v131, v132, v32 dst_sel:DWORD dst_unused:UNUSED_PAD src0_sel:DWORD src1_sel:WORD_1
	v_fma_f16 v131, v53, v32, -v131
	v_mul_f16_sdwa v53, v53, v32 dst_sel:DWORD dst_unused:UNUSED_PAD src0_sel:DWORD src1_sel:WORD_1
	v_fma_f16 v53, v132, v32, v53
	;; [unrolled: 9-line block ×6, first 2 shown]
	s_waitcnt vmcnt(0)
	v_mul_f16_sdwa v145, v147, v41 dst_sel:DWORD dst_unused:UNUSED_PAD src0_sel:DWORD src1_sel:WORD_1
	v_fma_f16 v145, v126, v41, -v145
	v_mul_f16_sdwa v126, v126, v41 dst_sel:DWORD dst_unused:UNUSED_PAD src0_sel:DWORD src1_sel:WORD_1
	v_fma_f16 v126, v147, v41, v126
	v_mul_f16_sdwa v147, v148, v42 dst_sel:DWORD dst_unused:UNUSED_PAD src0_sel:DWORD src1_sel:WORD_1
	v_fma_f16 v147, v143, v42, -v147
	v_mul_f16_sdwa v143, v143, v42 dst_sel:DWORD dst_unused:UNUSED_PAD src0_sel:DWORD src1_sel:WORD_1
	v_add_f16_e32 v150, v149, v128
	v_fma_f16 v143, v148, v42, v143
	v_add_f16_e32 v148, v45, v149
	v_fma_f16 v45, v150, -0.5, v45
	v_sub_f16_e32 v150, v51, v52
	v_fma_f16 v151, v150, s4, v45
	v_fma_f16 v45, v150, s5, v45
	v_add_f16_e32 v150, v127, v51
	v_add_f16_e32 v51, v51, v52
	;; [unrolled: 1-line block ×4, first 2 shown]
	v_fma_f16 v51, v51, -0.5, v127
	v_sub_f16_e32 v52, v149, v128
	v_add_f16_e32 v128, v129, v131
	v_fma_f16 v127, v52, s5, v51
	v_fma_f16 v51, v52, s4, v51
	v_add_f16_e32 v52, v46, v129
	v_fma_f16 v46, v128, -0.5, v46
	v_sub_f16_e32 v128, v54, v53
	v_fma_f16 v149, v128, s4, v46
	v_fma_f16 v46, v128, s5, v46
	v_add_f16_e32 v128, v130, v54
	v_add_f16_e32 v128, v128, v53
	v_add_f16_e32 v53, v54, v53
	v_fma_f16 v53, v53, -0.5, v130
	v_sub_f16_e32 v54, v129, v131
	v_add_f16_e32 v130, v132, v134
	v_fma_f16 v129, v54, s5, v53
	v_fma_f16 v53, v54, s4, v53
	v_add_f16_e32 v54, v56, v132
	v_fma_f16 v56, v130, -0.5, v56
	v_sub_f16_e32 v130, v55, v58
	v_add_f16_e32 v52, v52, v131
	v_fma_f16 v131, v130, s4, v56
	v_fma_f16 v56, v130, s5, v56
	v_add_f16_e32 v130, v133, v55
	v_add_f16_e32 v55, v55, v58
	v_add_f16_e32 v130, v130, v58
	v_fma_f16 v55, v55, -0.5, v133
	v_sub_f16_e32 v58, v132, v134
	v_add_f16_e32 v133, v135, v137
	v_fma_f16 v132, v58, s5, v55
	v_fma_f16 v55, v58, s4, v55
	v_add_f16_e32 v58, v57, v135
	v_fma_f16 v57, v133, -0.5, v57
	v_sub_f16_e32 v133, v60, v59
	v_add_f16_e32 v54, v54, v134
	v_fma_f16 v134, v133, s4, v57
	v_fma_f16 v57, v133, s5, v57
	v_add_f16_e32 v133, v136, v60
	v_add_f16_e32 v133, v133, v59
	v_add_f16_e32 v59, v60, v59
	v_fma_f16 v59, v59, -0.5, v136
	v_sub_f16_e32 v60, v135, v137
	v_add_f16_e32 v136, v138, v140
	v_fma_f16 v135, v60, s5, v59
	v_fma_f16 v59, v60, s4, v59
	v_add_f16_e32 v60, v121, v138
	v_fma_f16 v121, v136, -0.5, v121
	v_sub_f16_e32 v136, v61, v123
	v_add_f16_e32 v58, v58, v137
	v_fma_f16 v137, v136, s4, v121
	v_fma_f16 v136, v136, s5, v121
	v_add_f16_e32 v121, v139, v61
	v_add_f16_e32 v61, v61, v123
	v_add_f16_e32 v152, v121, v123
	v_fma_f16 v61, v61, -0.5, v139
	v_sub_f16_e32 v121, v138, v140
	v_fma_f16 v123, v121, s5, v61
	v_fma_f16 v61, v121, s4, v61
	v_add_f16_e32 v121, v122, v141
	v_add_f16_e32 v138, v121, v144
	;; [unrolled: 1-line block ×3, first 2 shown]
	v_fma_f16 v121, v121, -0.5, v122
	v_sub_f16_e32 v122, v125, v124
	v_add_f16_e32 v60, v60, v140
	v_fma_f16 v139, v122, s4, v121
	v_fma_f16 v140, v122, s5, v121
	v_add_f16_e32 v121, v142, v125
	v_add_f16_e32 v153, v121, v124
	;; [unrolled: 1-line block ×3, first 2 shown]
	v_fma_f16 v121, v121, -0.5, v142
	v_sub_f16_e32 v122, v141, v144
	v_fma_f16 v124, v122, s5, v121
	v_fma_f16 v125, v122, s4, v121
	v_add_f16_e32 v121, v50, v145
	v_add_f16_e32 v141, v121, v147
	;; [unrolled: 1-line block ×3, first 2 shown]
	v_fma_f16 v50, v121, -0.5, v50
	v_sub_f16_e32 v121, v126, v143
	v_add_f16_e32 v122, v126, v143
	v_fma_f16 v142, v121, s4, v50
	v_fma_f16 v121, v121, s5, v50
	v_add_f16_e32 v50, v146, v126
	v_fma_f16 v122, v122, -0.5, v146
	v_sub_f16_e32 v126, v145, v147
	v_pack_b32_f16 v45, v45, v51
	v_add_f16_e32 v50, v50, v143
	v_fma_f16 v143, v126, s5, v122
	v_fma_f16 v122, v126, s4, v122
	v_pack_b32_f16 v126, v148, v150
	v_pack_b32_f16 v127, v151, v127
	ds_write_b32 v67, v45 offset:2912
	v_pack_b32_f16 v45, v52, v128
	ds_write_b32 v67, v127 offset:1456
	ds_write2_b32 v67, v126, v45 offset1:52
	v_pack_b32_f16 v45, v149, v129
	v_pack_b32_f16 v52, v131, v132
	v_pack_b32_f16 v46, v46, v53
	ds_write2_b32 v63, v45, v52 offset0:160 offset1:212
	v_pack_b32_f16 v45, v56, v55
	v_pack_b32_f16 v51, v54, v130
	ds_write2_b32 v64, v46, v45 offset0:12 offset1:64
	v_pack_b32_f16 v45, v58, v133
	ds_write2_b32 v67, v51, v45 offset0:104 offset1:156
	v_pack_b32_f16 v45, v134, v135
	v_pack_b32_f16 v46, v57, v59
	;; [unrolled: 1-line block ×3, first 2 shown]
	ds_write_b32 v67, v46 offset:3536
	v_pack_b32_f16 v46, v60, v152
	ds_write2_b32 v47, v45, v51 offset0:8 offset1:60
	v_pack_b32_f16 v51, v138, v153
	v_pack_b32_f16 v45, v136, v61
	ds_write2_b32 v49, v46, v51 offset0:80 offset1:132
	v_pack_b32_f16 v51, v140, v125
	ds_write2_b32 v64, v45, v51 offset0:168 offset1:220
	v_pack_b32_f16 v45, v141, v50
	v_pack_b32_f16 v46, v139, v124
	ds_write_b32 v67, v45 offset:1248
	v_pack_b32_f16 v45, v142, v143
	ds_write2_b32 v47, v46, v45 offset0:112 offset1:164
	v_pack_b32_f16 v45, v121, v122
	s_movk_i32 s4, 0x1000
	ds_write_b32 v67, v45 offset:4160
	v_add_co_u32_e32 v45, vcc, s4, v20
	v_addc_co_u32_e32 v46, vcc, 0, v62, vcc
	s_waitcnt lgkmcnt(0)
	; wave barrier
	s_waitcnt lgkmcnt(0)
	global_load_dword v52, v[45:46], off offset:272
	s_movk_i32 s4, 0x1110
	v_add_co_u32_e32 v45, vcc, s4, v20
	v_addc_co_u32_e32 v46, vcc, 0, v62, vcc
	global_load_dword v54, v[45:46], off offset:2184
	global_load_dword v55, v[45:46], off offset:208
	global_load_dword v56, v[45:46], off offset:2392
	global_load_dword v57, v[45:46], off offset:416
	global_load_dword v58, v[45:46], off offset:2600
	global_load_dword v59, v[45:46], off offset:624
	global_load_dword v60, v[45:46], off offset:2808
	global_load_dword v61, v[45:46], off offset:832
	ds_read2_b32 v[50:51], v67 offset1:52
	global_load_dword v62, v[45:46], off offset:3016
	global_load_dword v123, v[45:46], off offset:4056
	s_waitcnt lgkmcnt(0)
	v_lshrrev_b32_e32 v53, 16, v50
	s_waitcnt vmcnt(10)
	v_mul_f16_sdwa v124, v53, v52 dst_sel:DWORD dst_unused:UNUSED_PAD src0_sel:DWORD src1_sel:WORD_1
	v_fma_f16 v124, v50, v52, -v124
	v_mul_f16_sdwa v50, v50, v52 dst_sel:DWORD dst_unused:UNUSED_PAD src0_sel:DWORD src1_sel:WORD_1
	v_fma_f16 v50, v53, v52, v50
	v_pack_b32_f16 v50, v124, v50
	global_load_dword v124, v[45:46], off offset:3224
	global_load_dword v125, v[45:46], off offset:1040
	ds_write_b32 v67, v50
	ds_read2_b32 v[52:53], v47 offset0:34 offset1:86
	global_load_dword v126, v[45:46], off offset:3640
	global_load_dword v127, v[45:46], off offset:3848
	;; [unrolled: 1-line block ×5, first 2 shown]
	s_waitcnt lgkmcnt(0)
	v_lshrrev_b32_e32 v50, 16, v52
	s_waitcnt vmcnt(16)
	v_mul_f16_sdwa v131, v50, v54 dst_sel:DWORD dst_unused:UNUSED_PAD src0_sel:DWORD src1_sel:WORD_1
	v_fma_f16 v131, v52, v54, -v131
	v_mul_f16_sdwa v52, v52, v54 dst_sel:DWORD dst_unused:UNUSED_PAD src0_sel:DWORD src1_sel:WORD_1
	v_fma_f16 v50, v50, v54, v52
	v_pack_b32_f16 v54, v131, v50
	global_load_dword v131, v[45:46], off offset:1456
	global_load_dword v132, v[45:46], off offset:1664
	v_lshrrev_b32_e32 v50, 16, v51
	s_waitcnt vmcnt(17)
	v_mul_f16_sdwa v52, v50, v55 dst_sel:DWORD dst_unused:UNUSED_PAD src0_sel:DWORD src1_sel:WORD_1
	v_fma_f16 v52, v51, v55, -v52
	v_mul_f16_sdwa v51, v51, v55 dst_sel:DWORD dst_unused:UNUSED_PAD src0_sel:DWORD src1_sel:WORD_1
	v_fma_f16 v50, v50, v55, v51
	v_pack_b32_f16 v55, v52, v50
	ds_read2_b32 v[50:51], v67 offset0:104 offset1:156
	v_lshrrev_b32_e32 v52, 16, v53
	s_waitcnt vmcnt(16)
	v_mul_f16_sdwa v133, v52, v56 dst_sel:DWORD dst_unused:UNUSED_PAD src0_sel:DWORD src1_sel:WORD_1
	v_fma_f16 v133, v53, v56, -v133
	v_mul_f16_sdwa v53, v53, v56 dst_sel:DWORD dst_unused:UNUSED_PAD src0_sel:DWORD src1_sel:WORD_1
	v_fma_f16 v52, v52, v56, v53
	v_pack_b32_f16 v56, v133, v52
	s_waitcnt lgkmcnt(0)
	v_lshrrev_b32_e32 v133, 16, v50
	s_waitcnt vmcnt(15)
	v_mul_f16_sdwa v52, v133, v57 dst_sel:DWORD dst_unused:UNUSED_PAD src0_sel:DWORD src1_sel:WORD_1
	v_fma_f16 v134, v50, v57, -v52
	ds_read2_b32 v[52:53], v47 offset0:138 offset1:190
	v_mul_f16_sdwa v50, v50, v57 dst_sel:DWORD dst_unused:UNUSED_PAD src0_sel:DWORD src1_sel:WORD_1
	v_fma_f16 v50, v133, v57, v50
	v_pack_b32_f16 v50, v134, v50
	ds_write2_b32 v67, v55, v50 offset0:52 offset1:104
	s_waitcnt lgkmcnt(1)
	v_lshrrev_b32_e32 v50, 16, v52
	s_waitcnt vmcnt(14)
	v_mul_f16_sdwa v55, v50, v58 dst_sel:DWORD dst_unused:UNUSED_PAD src0_sel:DWORD src1_sel:WORD_1
	v_fma_f16 v55, v52, v58, -v55
	v_mul_f16_sdwa v52, v52, v58 dst_sel:DWORD dst_unused:UNUSED_PAD src0_sel:DWORD src1_sel:WORD_1
	v_fma_f16 v50, v50, v58, v52
	v_pack_b32_f16 v50, v55, v50
	ds_write2_b32 v47, v56, v50 offset0:86 offset1:138
	v_lshrrev_b32_e32 v50, 16, v51
	s_waitcnt vmcnt(13)
	v_mul_f16_sdwa v52, v50, v59 dst_sel:DWORD dst_unused:UNUSED_PAD src0_sel:DWORD src1_sel:WORD_1
	v_fma_f16 v52, v51, v59, -v52
	v_mul_f16_sdwa v51, v51, v59 dst_sel:DWORD dst_unused:UNUSED_PAD src0_sel:DWORD src1_sel:WORD_1
	v_fma_f16 v50, v50, v59, v51
	v_pack_b32_f16 v55, v52, v50
	ds_read2_b32 v[50:51], v49 offset0:80 offset1:132
	v_lshrrev_b32_e32 v52, 16, v53
	s_waitcnt vmcnt(12)
	v_mul_f16_sdwa v56, v52, v60 dst_sel:DWORD dst_unused:UNUSED_PAD src0_sel:DWORD src1_sel:WORD_1
	v_fma_f16 v56, v53, v60, -v56
	v_mul_f16_sdwa v53, v53, v60 dst_sel:DWORD dst_unused:UNUSED_PAD src0_sel:DWORD src1_sel:WORD_1
	v_fma_f16 v52, v52, v60, v53
	s_waitcnt lgkmcnt(0)
	v_lshrrev_b32_e32 v57, 16, v50
	v_pack_b32_f16 v56, v56, v52
	s_waitcnt vmcnt(11)
	v_mul_f16_sdwa v52, v57, v61 dst_sel:DWORD dst_unused:UNUSED_PAD src0_sel:DWORD src1_sel:WORD_1
	v_fma_f16 v58, v50, v61, -v52
	ds_read2_b32 v[52:53], v48 offset0:114 offset1:166
	v_mul_f16_sdwa v50, v50, v61 dst_sel:DWORD dst_unused:UNUSED_PAD src0_sel:DWORD src1_sel:WORD_1
	v_fma_f16 v50, v57, v61, v50
	v_pack_b32_f16 v50, v58, v50
	ds_write2_b32 v67, v55, v50 offset0:156 offset1:208
	s_waitcnt lgkmcnt(1)
	v_lshrrev_b32_e32 v50, 16, v52
	s_waitcnt vmcnt(10)
	v_mul_f16_sdwa v55, v50, v62 dst_sel:DWORD dst_unused:UNUSED_PAD src0_sel:DWORD src1_sel:WORD_1
	v_fma_f16 v55, v52, v62, -v55
	v_mul_f16_sdwa v52, v52, v62 dst_sel:DWORD dst_unused:UNUSED_PAD src0_sel:DWORD src1_sel:WORD_1
	v_fma_f16 v50, v50, v62, v52
	v_pack_b32_f16 v50, v55, v50
	ds_write2_b32 v47, v56, v50 offset0:190 offset1:242
	v_lshrrev_b32_e32 v50, 16, v51
	s_waitcnt vmcnt(7)
	v_mul_f16_sdwa v52, v50, v125 dst_sel:DWORD dst_unused:UNUSED_PAD src0_sel:DWORD src1_sel:WORD_1
	v_fma_f16 v52, v51, v125, -v52
	v_mul_f16_sdwa v51, v51, v125 dst_sel:DWORD dst_unused:UNUSED_PAD src0_sel:DWORD src1_sel:WORD_1
	v_fma_f16 v50, v50, v125, v51
	v_pack_b32_f16 v55, v52, v50
	ds_read2_b32 v[50:51], v63 offset0:56 offset1:108
	v_lshrrev_b32_e32 v52, 16, v53
	v_mul_f16_sdwa v56, v52, v124 dst_sel:DWORD dst_unused:UNUSED_PAD src0_sel:DWORD src1_sel:WORD_1
	v_fma_f16 v56, v53, v124, -v56
	v_mul_f16_sdwa v53, v53, v124 dst_sel:DWORD dst_unused:UNUSED_PAD src0_sel:DWORD src1_sel:WORD_1
	v_fma_f16 v52, v52, v124, v53
	s_waitcnt lgkmcnt(0)
	v_lshrrev_b32_e32 v57, 16, v50
	v_pack_b32_f16 v56, v56, v52
	s_waitcnt vmcnt(4)
	v_mul_f16_sdwa v52, v57, v128 dst_sel:DWORD dst_unused:UNUSED_PAD src0_sel:DWORD src1_sel:WORD_1
	v_fma_f16 v58, v50, v128, -v52
	ds_read2_b32 v[52:53], v64 offset0:90 offset1:142
	v_mul_f16_sdwa v50, v50, v128 dst_sel:DWORD dst_unused:UNUSED_PAD src0_sel:DWORD src1_sel:WORD_1
	v_fma_f16 v50, v57, v128, v50
	v_pack_b32_f16 v50, v58, v50
	ds_write2_b32 v63, v55, v50 offset0:4 offset1:56
	s_waitcnt lgkmcnt(1)
	v_lshrrev_b32_e32 v50, 16, v52
	s_waitcnt vmcnt(3)
	v_mul_f16_sdwa v55, v50, v129 dst_sel:DWORD dst_unused:UNUSED_PAD src0_sel:DWORD src1_sel:WORD_1
	v_fma_f16 v55, v52, v129, -v55
	v_mul_f16_sdwa v52, v52, v129 dst_sel:DWORD dst_unused:UNUSED_PAD src0_sel:DWORD src1_sel:WORD_1
	v_fma_f16 v50, v50, v129, v52
	v_pack_b32_f16 v50, v55, v50
	ds_write2_b32 v64, v56, v50 offset0:38 offset1:90
	v_lshrrev_b32_e32 v50, 16, v51
	s_waitcnt vmcnt(1)
	v_mul_f16_sdwa v52, v50, v131 dst_sel:DWORD dst_unused:UNUSED_PAD src0_sel:DWORD src1_sel:WORD_1
	v_fma_f16 v52, v51, v131, -v52
	v_mul_f16_sdwa v51, v51, v131 dst_sel:DWORD dst_unused:UNUSED_PAD src0_sel:DWORD src1_sel:WORD_1
	v_fma_f16 v50, v50, v131, v51
	v_pack_b32_f16 v55, v52, v50
	ds_read2_b32 v[50:51], v63 offset0:160 offset1:212
	v_lshrrev_b32_e32 v52, 16, v53
	v_mul_f16_sdwa v56, v52, v126 dst_sel:DWORD dst_unused:UNUSED_PAD src0_sel:DWORD src1_sel:WORD_1
	v_fma_f16 v56, v53, v126, -v56
	v_mul_f16_sdwa v53, v53, v126 dst_sel:DWORD dst_unused:UNUSED_PAD src0_sel:DWORD src1_sel:WORD_1
	v_fma_f16 v52, v52, v126, v53
	s_waitcnt lgkmcnt(0)
	v_lshrrev_b32_e32 v57, 16, v50
	v_pack_b32_f16 v56, v56, v52
	s_waitcnt vmcnt(0)
	v_mul_f16_sdwa v52, v57, v132 dst_sel:DWORD dst_unused:UNUSED_PAD src0_sel:DWORD src1_sel:WORD_1
	v_fma_f16 v58, v50, v132, -v52
	ds_read2_b32 v[52:53], v64 offset0:194 offset1:246
	v_mul_f16_sdwa v50, v50, v132 dst_sel:DWORD dst_unused:UNUSED_PAD src0_sel:DWORD src1_sel:WORD_1
	v_fma_f16 v50, v57, v132, v50
	v_pack_b32_f16 v50, v58, v50
	ds_write2_b32 v63, v55, v50 offset0:108 offset1:160
	s_waitcnt lgkmcnt(1)
	v_lshrrev_b32_e32 v50, 16, v52
	v_mul_f16_sdwa v55, v50, v127 dst_sel:DWORD dst_unused:UNUSED_PAD src0_sel:DWORD src1_sel:WORD_1
	v_fma_f16 v55, v52, v127, -v55
	v_mul_f16_sdwa v52, v52, v127 dst_sel:DWORD dst_unused:UNUSED_PAD src0_sel:DWORD src1_sel:WORD_1
	v_fma_f16 v50, v50, v127, v52
	v_pack_b32_f16 v50, v55, v50
	ds_write2_b32 v64, v56, v50 offset0:142 offset1:194
	v_lshrrev_b32_e32 v50, 16, v51
	v_mul_f16_sdwa v52, v50, v130 dst_sel:DWORD dst_unused:UNUSED_PAD src0_sel:DWORD src1_sel:WORD_1
	v_fma_f16 v52, v51, v130, -v52
	v_mul_f16_sdwa v51, v51, v130 dst_sel:DWORD dst_unused:UNUSED_PAD src0_sel:DWORD src1_sel:WORD_1
	v_fma_f16 v50, v50, v130, v51
	v_pack_b32_f16 v50, v52, v50
	v_add_u32_e32 v51, 0x600, v67
	ds_write2_b32 v51, v50, v54 offset0:84 offset1:162
	v_lshrrev_b32_e32 v50, 16, v53
	v_mul_f16_sdwa v51, v50, v123 dst_sel:DWORD dst_unused:UNUSED_PAD src0_sel:DWORD src1_sel:WORD_1
	v_mul_f16_sdwa v52, v53, v123 dst_sel:DWORD dst_unused:UNUSED_PAD src0_sel:DWORD src1_sel:WORD_1
	v_fma_f16 v51, v53, v123, -v51
	v_fma_f16 v50, v50, v123, v52
	v_pack_b32_f16 v50, v51, v50
	ds_write_b32 v67, v50 offset:4056
	s_and_saveexec_b64 s[4:5], s[0:1]
	s_cbranch_execz .LBB0_17
; %bb.16:
	global_load_dword v50, v[45:46], off offset:2080
	v_add_co_u32_e32 v45, vcc, 0x1000, v45
	v_addc_co_u32_e32 v46, vcc, 0, v46, vcc
	global_load_dword v45, v[45:46], off offset:168
	ds_read_b32 v46, v67 offset:2080
	ds_read_b32 v51, v67 offset:4264
	s_waitcnt lgkmcnt(1)
	v_lshrrev_b32_e32 v52, 16, v46
	s_waitcnt lgkmcnt(0)
	v_lshrrev_b32_e32 v53, 16, v51
	s_waitcnt vmcnt(1)
	v_mul_f16_sdwa v54, v52, v50 dst_sel:DWORD dst_unused:UNUSED_PAD src0_sel:DWORD src1_sel:WORD_1
	v_mul_f16_sdwa v55, v46, v50 dst_sel:DWORD dst_unused:UNUSED_PAD src0_sel:DWORD src1_sel:WORD_1
	v_fma_f16 v46, v46, v50, -v54
	v_fma_f16 v50, v52, v50, v55
	v_pack_b32_f16 v46, v46, v50
	s_waitcnt vmcnt(0)
	v_mul_f16_sdwa v50, v53, v45 dst_sel:DWORD dst_unused:UNUSED_PAD src0_sel:DWORD src1_sel:WORD_1
	v_mul_f16_sdwa v52, v51, v45 dst_sel:DWORD dst_unused:UNUSED_PAD src0_sel:DWORD src1_sel:WORD_1
	ds_write_b32 v67, v46 offset:2080
	v_fma_f16 v46, v51, v45, -v50
	v_fma_f16 v45, v53, v45, v52
	v_pack_b32_f16 v45, v46, v45
	ds_write_b32 v67, v45 offset:4264
.LBB0_17:
	s_or_b64 exec, exec, s[4:5]
	s_waitcnt lgkmcnt(0)
	; wave barrier
	s_waitcnt lgkmcnt(0)
	ds_read2_b32 v[53:54], v67 offset1:52
	ds_read2_b32 v[55:56], v47 offset0:34 offset1:86
	ds_read2_b32 v[51:52], v67 offset0:104 offset1:156
	;; [unrolled: 1-line block ×9, first 2 shown]
	v_lshlrev_b32_e32 v125, 2, v102
	v_lshlrev_b32_e32 v124, 2, v105
	v_lshlrev_b32_e32 v123, 2, v109
	s_and_saveexec_b64 s[4:5], s[0:1]
	s_cbranch_execz .LBB0_19
; %bb.18:
	ds_read_b32 v121, v67 offset:2080
	ds_read_b32 v118, v67 offset:4264
	s_waitcnt lgkmcnt(1)
	v_lshrrev_b32_e32 v122, 16, v121
	s_waitcnt lgkmcnt(0)
	v_lshrrev_b32_e32 v119, 16, v118
.LBB0_19:
	s_or_b64 exec, exec, s[4:5]
	s_waitcnt lgkmcnt(8)
	v_pk_add_f16 v127, v53, v55 neg_lo:[0,1] neg_hi:[0,1]
	v_pk_add_f16 v55, v54, v56 neg_lo:[0,1] neg_hi:[0,1]
	s_waitcnt lgkmcnt(6)
	v_pk_add_f16 v56, v51, v57 neg_lo:[0,1] neg_hi:[0,1]
	v_pk_fma_f16 v126, v53, 2.0, v127 op_sel_hi:[1,0,1] neg_lo:[0,0,1] neg_hi:[0,0,1]
	v_pk_fma_f16 v54, v54, 2.0, v55 op_sel_hi:[1,0,1] neg_lo:[0,0,1] neg_hi:[0,0,1]
	v_pk_add_f16 v57, v52, v58 neg_lo:[0,1] neg_hi:[0,1]
	s_waitcnt lgkmcnt(0)
	; wave barrier
	s_waitcnt lgkmcnt(0)
	ds_write_b64 v65, v[126:127]
	ds_write_b64 v66, v[54:55]
	v_pk_fma_f16 v55, v51, 2.0, v56 op_sel_hi:[1,0,1] neg_lo:[0,0,1] neg_hi:[0,0,1]
	v_pk_add_f16 v58, v49, v59 neg_lo:[0,1] neg_hi:[0,1]
	ds_write_b64 v91, v[55:56]
	v_pk_fma_f16 v56, v52, 2.0, v57 op_sel_hi:[1,0,1] neg_lo:[0,0,1] neg_hi:[0,0,1]
	v_pk_add_f16 v59, v50, v60 neg_lo:[0,1] neg_hi:[0,1]
	;; [unrolled: 3-line block ×6, first 2 shown]
	v_sub_f16_e32 v102, v121, v118
	v_sub_f16_e32 v105, v122, v119
	ds_write_b64 v125, v[60:61]
	v_pk_fma_f16 v61, v45, 2.0, v62 op_sel_hi:[1,0,1] neg_lo:[0,0,1] neg_hi:[0,0,1]
	v_fma_f16 v109, v121, 2.0, -v102
	v_fma_f16 v118, v122, 2.0, -v105
	ds_write_b64 v124, v[61:62]
	v_pk_fma_f16 v62, v46, 2.0, v63 op_sel_hi:[1,0,1] neg_lo:[0,0,1] neg_hi:[0,0,1]
	ds_write_b64 v123, v[62:63]
	s_and_saveexec_b64 s[4:5], s[0:1]
	s_cbranch_execz .LBB0_21
; %bb.20:
	s_mov_b32 s6, 0x5040100
	v_perm_b32 v46, v105, v102, s6
	v_perm_b32 v45, v118, v109, s6
	ds_write_b64 v93, v[45:46]
.LBB0_21:
	s_or_b64 exec, exec, s[4:5]
	v_add_u32_e32 v45, 0x800, v67
	s_waitcnt lgkmcnt(0)
	; wave barrier
	s_waitcnt lgkmcnt(0)
	ds_read2_b32 v[55:56], v67 offset1:52
	ds_read2_b32 v[65:66], v45 offset0:34 offset1:86
	ds_read2_b32 v[53:54], v67 offset0:104 offset1:156
	;; [unrolled: 1-line block ×3, first 2 shown]
	v_add_u32_e32 v45, 0x200, v67
	ds_read2_b32 v[51:52], v45 offset0:80 offset1:132
	v_add_u32_e32 v45, 0xa00, v67
	ds_read2_b32 v[61:62], v45 offset0:114 offset1:166
	v_add_u32_e32 v45, 0x400, v67
	v_add_u32_e32 v48, 0xc00, v67
	ds_read2_b32 v[46:47], v45 offset0:56 offset1:108
	ds_read2_b32 v[59:60], v48 offset0:90 offset1:142
	;; [unrolled: 1-line block ×4, first 2 shown]
	s_and_saveexec_b64 s[4:5], s[0:1]
	s_cbranch_execz .LBB0_23
; %bb.22:
	ds_read_b32 v109, v67 offset:2080
	ds_read_b32 v102, v67 offset:4264
	s_waitcnt lgkmcnt(1)
	v_lshrrev_b32_e32 v118, 16, v109
	s_waitcnt lgkmcnt(0)
	v_lshrrev_b32_e32 v105, 16, v102
.LBB0_23:
	s_or_b64 exec, exec, s[4:5]
	s_waitcnt lgkmcnt(8)
	v_lshrrev_b32_e32 v48, 16, v65
	v_mul_f16_sdwa v132, v43, v48 dst_sel:DWORD dst_unused:UNUSED_PAD src0_sel:WORD_1 src1_sel:DWORD
	v_lshrrev_b32_e32 v92, 16, v66
	v_fma_f16 v132, v43, v65, v132
	v_mul_f16_sdwa v65, v43, v65 dst_sel:DWORD dst_unused:UNUSED_PAD src0_sel:WORD_1 src1_sel:DWORD
	v_fma_f16 v48, v43, v48, -v65
	v_mul_f16_sdwa v65, v43, v92 dst_sel:DWORD dst_unused:UNUSED_PAD src0_sel:WORD_1 src1_sel:DWORD
	s_waitcnt lgkmcnt(6)
	v_lshrrev_b32_e32 v94, 16, v63
	v_fma_f16 v65, v43, v66, v65
	v_mul_f16_sdwa v66, v43, v66 dst_sel:DWORD dst_unused:UNUSED_PAD src0_sel:WORD_1 src1_sel:DWORD
	v_fma_f16 v66, v43, v92, -v66
	v_mul_f16_sdwa v92, v43, v94 dst_sel:DWORD dst_unused:UNUSED_PAD src0_sel:WORD_1 src1_sel:DWORD
	v_lshrrev_b32_e32 v119, 16, v64
	v_fma_f16 v92, v43, v63, v92
	v_mul_f16_sdwa v63, v43, v63 dst_sel:DWORD dst_unused:UNUSED_PAD src0_sel:WORD_1 src1_sel:DWORD
	v_fma_f16 v63, v43, v94, -v63
	v_mul_f16_sdwa v94, v43, v119 dst_sel:DWORD dst_unused:UNUSED_PAD src0_sel:WORD_1 src1_sel:DWORD
	s_waitcnt lgkmcnt(4)
	v_lshrrev_b32_e32 v121, 16, v61
	v_fma_f16 v94, v43, v64, v94
	v_mul_f16_sdwa v64, v43, v64 dst_sel:DWORD dst_unused:UNUSED_PAD src0_sel:WORD_1 src1_sel:DWORD
	v_fma_f16 v64, v43, v119, -v64
	;; [unrolled: 11-line block ×3, first 2 shown]
	v_mul_f16_sdwa v123, v43, v125 dst_sel:DWORD dst_unused:UNUSED_PAD src0_sel:WORD_1 src1_sel:DWORD
	v_lshrrev_b32_e32 v127, 16, v60
	v_fma_f16 v123, v43, v59, v123
	v_mul_f16_sdwa v59, v43, v59 dst_sel:DWORD dst_unused:UNUSED_PAD src0_sel:WORD_1 src1_sel:DWORD
	v_fma_f16 v59, v43, v125, -v59
	v_mul_f16_sdwa v125, v43, v127 dst_sel:DWORD dst_unused:UNUSED_PAD src0_sel:WORD_1 src1_sel:DWORD
	s_waitcnt lgkmcnt(0)
	v_lshrrev_b32_e32 v129, 16, v57
	v_fma_f16 v125, v43, v60, v125
	v_mul_f16_sdwa v60, v43, v60 dst_sel:DWORD dst_unused:UNUSED_PAD src0_sel:WORD_1 src1_sel:DWORD
	v_lshrrev_b32_e32 v45, 16, v55
	v_fma_f16 v60, v43, v127, -v60
	v_mul_f16_sdwa v127, v43, v129 dst_sel:DWORD dst_unused:UNUSED_PAD src0_sel:WORD_1 src1_sel:DWORD
	v_lshrrev_b32_e32 v91, 16, v56
	v_fma_f16 v127, v43, v57, v127
	v_mul_f16_sdwa v57, v43, v57 dst_sel:DWORD dst_unused:UNUSED_PAD src0_sel:WORD_1 src1_sel:DWORD
	v_sub_f16_e32 v132, v55, v132
	v_sub_f16_e32 v133, v45, v48
	v_lshrrev_b32_e32 v93, 16, v53
	v_lshrrev_b32_e32 v128, 16, v49
	v_fma_f16 v57, v43, v129, -v57
	v_fma_f16 v55, v55, 2.0, -v132
	v_fma_f16 v134, v45, 2.0, -v133
	v_sub_f16_e32 v135, v56, v65
	v_sub_f16_e32 v136, v91, v66
	v_lshrrev_b32_e32 v95, 16, v54
	v_fma_f16 v56, v56, 2.0, -v135
	v_fma_f16 v137, v91, 2.0, -v136
	v_sub_f16_e32 v138, v53, v92
	v_sub_f16_e32 v63, v93, v63
	;; [unrolled: 1-line block ×3, first 2 shown]
	v_pack_b32_f16 v55, v55, v134
	v_pack_b32_f16 v57, v132, v133
	v_lshrrev_b32_e32 v120, 16, v51
	v_lshrrev_b32_e32 v131, 16, v58
	v_fma_f16 v53, v53, 2.0, -v138
	v_fma_f16 v139, v93, 2.0, -v63
	v_sub_f16_e32 v140, v54, v94
	v_sub_f16_e32 v64, v95, v64
	s_waitcnt lgkmcnt(0)
	; wave barrier
	ds_write2_b32 v96, v55, v57 offset1:2
	v_pack_b32_f16 v55, v56, v137
	v_pack_b32_f16 v56, v135, v136
	v_lshrrev_b32_e32 v122, 16, v52
	v_mul_f16_sdwa v129, v43, v131 dst_sel:DWORD dst_unused:UNUSED_PAD src0_sel:WORD_1 src1_sel:DWORD
	v_fma_f16 v54, v54, 2.0, -v140
	v_fma_f16 v141, v95, 2.0, -v64
	v_sub_f16_e32 v119, v51, v119
	v_sub_f16_e32 v61, v120, v61
	ds_write2_b32 v97, v55, v56 offset1:2
	v_pack_b32_f16 v53, v53, v139
	v_pack_b32_f16 v55, v138, v63
	v_lshrrev_b32_e32 v124, 16, v46
	v_fma_f16 v129, v43, v58, v129
	v_mul_f16_sdwa v58, v43, v58 dst_sel:DWORD dst_unused:UNUSED_PAD src0_sel:WORD_1 src1_sel:DWORD
	v_fma_f16 v142, v51, 2.0, -v119
	v_fma_f16 v120, v120, 2.0, -v61
	v_sub_f16_e32 v121, v52, v121
	v_sub_f16_e32 v62, v122, v62
	ds_write2_b32 v98, v53, v55 offset1:2
	v_pack_b32_f16 v53, v54, v141
	v_pack_b32_f16 v54, v140, v64
	v_lshrrev_b32_e32 v126, 16, v47
	v_fma_f16 v58, v43, v131, -v58
	v_mul_f16_sdwa v131, v43, v105 dst_sel:DWORD dst_unused:UNUSED_PAD src0_sel:WORD_1 src1_sel:DWORD
	v_fma_f16 v143, v52, 2.0, -v121
	v_fma_f16 v122, v122, 2.0, -v62
	v_sub_f16_e32 v45, v46, v123
	v_sub_f16_e32 v65, v124, v59
	ds_write2_b32 v99, v53, v54 offset1:2
	v_pack_b32_f16 v53, v142, v120
	v_pack_b32_f16 v54, v119, v61
	v_fma_f16 v131, v43, v102, v131
	v_mul_f16_sdwa v102, v43, v102 dst_sel:DWORD dst_unused:UNUSED_PAD src0_sel:WORD_1 src1_sel:DWORD
	v_fma_f16 v59, v46, 2.0, -v45
	v_fma_f16 v123, v124, 2.0, -v65
	v_sub_f16_e32 v51, v47, v125
	v_sub_f16_e32 v95, v126, v60
	ds_write2_b32 v100, v53, v54 offset1:2
	v_pack_b32_f16 v53, v143, v122
	v_pack_b32_f16 v54, v121, v62
	v_lshrrev_b32_e32 v130, 16, v50
	v_fma_f16 v102, v43, v105, -v102
	v_fma_f16 v46, v47, 2.0, -v51
	v_fma_f16 v105, v126, 2.0, -v95
	v_sub_f16_e32 v47, v49, v127
	ds_write2_b32 v101, v53, v54 offset1:2
	v_pack_b32_f16 v53, v59, v123
	v_pack_b32_f16 v54, v45, v65
	v_fma_f16 v52, v49, 2.0, -v47
	v_fma_f16 v94, v128, 2.0, -v92
	v_sub_f16_e32 v49, v50, v129
	v_sub_f16_e32 v66, v130, v58
	ds_write2_b32 v103, v53, v54 offset1:2
	v_pack_b32_f16 v53, v46, v105
	v_pack_b32_f16 v54, v51, v95
	v_fma_f16 v48, v50, 2.0, -v49
	v_fma_f16 v91, v130, 2.0, -v66
	v_sub_f16_e32 v43, v109, v131
	v_sub_f16_e32 v102, v118, v102
	ds_write2_b32 v104, v53, v54 offset1:2
	v_pack_b32_f16 v53, v52, v94
	v_pack_b32_f16 v54, v47, v92
	v_fma_f16 v50, v109, 2.0, -v43
	v_fma_f16 v93, v118, 2.0, -v102
	ds_write2_b32 v107, v53, v54 offset1:2
	v_pack_b32_f16 v53, v48, v91
	v_pack_b32_f16 v54, v49, v66
	ds_write2_b32 v108, v53, v54 offset1:2
	s_and_saveexec_b64 s[4:5], s[0:1]
	s_cbranch_execz .LBB0_25
; %bb.24:
	s_movk_i32 s6, 0x47c
	v_and_or_b32 v53, v106, s6, v90
	s_mov_b32 s6, 0x5040100
	v_lshlrev_b32_e32 v53, 2, v53
	v_perm_b32 v54, v93, v50, s6
	v_perm_b32 v55, v102, v43, s6
	ds_write2_b32 v53, v54, v55 offset1:2
.LBB0_25:
	s_or_b64 exec, exec, s[4:5]
	v_add_u32_e32 v98, 0x400, v67
	v_add_u32_e32 v55, 0x600, v67
	;; [unrolled: 1-line block ×4, first 2 shown]
	s_waitcnt lgkmcnt(0)
	; wave barrier
	s_waitcnt lgkmcnt(0)
	ds_read2_b32 v[53:54], v67 offset1:84
	ds_read2_b32 v[63:64], v67 offset0:168 offset1:252
	ds_read2_b32 v[61:62], v98 offset0:80 offset1:164
	;; [unrolled: 1-line block ×5, first 2 shown]
	ds_read_b32 v90, v67 offset:4032
	s_and_saveexec_b64 s[4:5], s[2:3]
	s_cbranch_execz .LBB0_27
; %bb.26:
	v_add_u32_e32 v23, 0x200, v67
	ds_read2_b32 v[45:46], v67 offset0:52 offset1:136
	ds_read2_b32 v[51:52], v23 offset0:92 offset1:176
	;; [unrolled: 1-line block ×3, first 2 shown]
	v_add_u32_e32 v23, 0xa00, v67
	ds_read2_b32 v[49:50], v97 offset0:44 offset1:128
	ds_read2_b32 v[43:44], v23 offset0:84 offset1:168
	;; [unrolled: 1-line block ×3, first 2 shown]
	ds_read_b32 v116, v67 offset:4240
	s_waitcnt lgkmcnt(6)
	v_lshrrev_b32_e32 v65, 16, v45
	v_lshrrev_b32_e32 v105, 16, v46
	s_waitcnt lgkmcnt(5)
	v_lshrrev_b32_e32 v95, 16, v51
	v_lshrrev_b32_e32 v94, 16, v52
	;; [unrolled: 3-line block ×6, first 2 shown]
	s_waitcnt lgkmcnt(0)
	v_lshrrev_b32_e32 v117, 16, v116
.LBB0_27:
	s_or_b64 exec, exec, s[4:5]
	s_waitcnt lgkmcnt(6)
	v_lshrrev_b32_e32 v96, 16, v54
	v_mul_f16_sdwa v118, v4, v96 dst_sel:DWORD dst_unused:UNUSED_PAD src0_sel:WORD_1 src1_sel:DWORD
	s_waitcnt lgkmcnt(5)
	v_lshrrev_b32_e32 v97, 16, v63
	v_fma_f16 v118, v4, v54, v118
	v_mul_f16_sdwa v54, v4, v54 dst_sel:DWORD dst_unused:UNUSED_PAD src0_sel:WORD_1 src1_sel:DWORD
	v_fma_f16 v54, v4, v96, -v54
	v_mul_f16_sdwa v96, v5, v97 dst_sel:DWORD dst_unused:UNUSED_PAD src0_sel:WORD_1 src1_sel:DWORD
	v_lshrrev_b32_e32 v98, 16, v64
	v_fma_f16 v96, v5, v63, v96
	v_mul_f16_sdwa v63, v5, v63 dst_sel:DWORD dst_unused:UNUSED_PAD src0_sel:WORD_1 src1_sel:DWORD
	v_fma_f16 v63, v5, v97, -v63
	v_mul_f16_sdwa v97, v6, v98 dst_sel:DWORD dst_unused:UNUSED_PAD src0_sel:WORD_1 src1_sel:DWORD
	s_waitcnt lgkmcnt(4)
	v_lshrrev_b32_e32 v99, 16, v61
	v_fma_f16 v97, v6, v64, v97
	v_mul_f16_sdwa v64, v6, v64 dst_sel:DWORD dst_unused:UNUSED_PAD src0_sel:WORD_1 src1_sel:DWORD
	v_fma_f16 v64, v6, v98, -v64
	v_mul_f16_sdwa v98, v7, v99 dst_sel:DWORD dst_unused:UNUSED_PAD src0_sel:WORD_1 src1_sel:DWORD
	v_lshrrev_b32_e32 v100, 16, v62
	v_fma_f16 v98, v7, v61, v98
	v_mul_f16_sdwa v61, v7, v61 dst_sel:DWORD dst_unused:UNUSED_PAD src0_sel:WORD_1 src1_sel:DWORD
	v_fma_f16 v61, v7, v99, -v61
	;; [unrolled: 11-line block ×5, first 2 shown]
	v_mul_f16_sdwa v107, v10, v108 dst_sel:DWORD dst_unused:UNUSED_PAD src0_sel:WORD_1 src1_sel:DWORD
	s_waitcnt lgkmcnt(0)
	v_lshrrev_b32_e32 v109, 16, v90
	v_fma_f16 v107, v10, v56, v107
	v_mul_f16_sdwa v56, v10, v56 dst_sel:DWORD dst_unused:UNUSED_PAD src0_sel:WORD_1 src1_sel:DWORD
	v_fma_f16 v56, v10, v108, -v56
	v_mul_f16_sdwa v108, v11, v109 dst_sel:DWORD dst_unused:UNUSED_PAD src0_sel:WORD_1 src1_sel:DWORD
	v_fma_f16 v108, v11, v90, v108
	v_mul_f16_sdwa v90, v11, v90 dst_sel:DWORD dst_unused:UNUSED_PAD src0_sel:WORD_1 src1_sel:DWORD
	v_fma_f16 v90, v11, v109, -v90
	v_add_f16_e32 v109, v53, v118
	v_add_f16_sdwa v119, v53, v54 dst_sel:DWORD dst_unused:UNUSED_PAD src0_sel:WORD_1 src1_sel:DWORD
	v_add_f16_e32 v109, v109, v96
	v_add_f16_e32 v119, v119, v63
	v_add_f16_e32 v109, v109, v97
	v_add_f16_e32 v119, v119, v64
	v_add_f16_e32 v109, v109, v98
	v_add_f16_e32 v119, v119, v61
	v_add_f16_e32 v109, v109, v99
	v_add_f16_e32 v119, v119, v62
	v_add_f16_e32 v109, v109, v100
	v_add_f16_e32 v119, v119, v59
	v_add_f16_e32 v109, v109, v101
	v_add_f16_e32 v119, v119, v60
	v_add_f16_e32 v109, v109, v103
	v_add_f16_e32 v119, v119, v57
	v_add_f16_e32 v109, v109, v104
	v_add_f16_e32 v119, v119, v58
	v_add_f16_e32 v109, v109, v106
	v_add_f16_e32 v119, v119, v55
	v_add_f16_e32 v109, v109, v107
	v_add_f16_e32 v119, v119, v56
	v_add_f16_e32 v121, v54, v90
	v_sub_f16_e32 v54, v54, v90
	v_add_f16_e32 v109, v109, v108
	v_add_f16_e32 v119, v119, v90
	v_add_f16_e32 v120, v118, v108
	v_sub_f16_e32 v108, v118, v108
	s_mov_b32 s7, 0xb770
	v_mul_f16_e32 v90, 0xb770, v54
	s_movk_i32 s6, 0x3b15
	v_mul_f16_e32 v122, 0x3b15, v121
	s_movk_i32 s17, 0x3770
	s_mov_b32 s15, 0xba95
	v_mul_f16_e32 v124, 0xba95, v54
	s_movk_i32 s14, 0x388b
	v_mul_f16_e32 v126, 0x388b, v121
	s_mov_b32 s18, 0xbbf1
	v_mul_f16_e32 v128, 0xbbf1, v54
	s_movk_i32 s16, 0x2fb7
	v_mul_f16_e32 v130, 0x2fb7, v121
	s_mov_b32 s20, 0xbb7b
	v_mul_f16_e32 v132, 0xbb7b, v54
	s_mov_b32 s19, 0xb5ac
	v_mul_f16_e32 v134, 0xb5ac, v121
	s_movk_i32 s28, 0x3b7b
	s_mov_b32 s22, 0xb94e
	v_mul_f16_e32 v136, 0xb94e, v54
	s_mov_b32 s21, 0xb9fd
	v_mul_f16_e32 v138, 0xb9fd, v121
	s_movk_i32 s26, 0x394e
	;; [unrolled: 5-line block ×3, first 2 shown]
	v_fma_f16 v118, v120, s6, v90
	v_fma_f16 v123, v108, s17, v122
	v_fma_f16 v90, v120, s6, -v90
	v_fma_f16 v122, v108, s7, v122
	v_fma_f16 v125, v120, s14, v124
	v_fma_f16 v127, v108, s27, v126
	v_fma_f16 v124, v120, s14, -v124
	v_fma_f16 v126, v108, s15, v126
	;; [unrolled: 4-line block ×6, first 2 shown]
	v_add_f16_e32 v120, v63, v56
	v_sub_f16_e32 v56, v63, v56
	v_add_f16_e32 v118, v53, v118
	v_add_f16_sdwa v123, v53, v123 dst_sel:DWORD dst_unused:UNUSED_PAD src0_sel:WORD_1 src1_sel:DWORD
	v_add_f16_e32 v90, v53, v90
	v_add_f16_sdwa v122, v53, v122 dst_sel:DWORD dst_unused:UNUSED_PAD src0_sel:WORD_1 src1_sel:DWORD
	;; [unrolled: 2-line block ×12, first 2 shown]
	v_add_f16_e32 v108, v96, v107
	v_mul_f16_e32 v63, 0xba95, v56
	v_sub_f16_e32 v96, v96, v107
	v_fma_f16 v107, v108, s14, v63
	v_add_f16_e32 v107, v107, v118
	v_mul_f16_e32 v118, 0x388b, v120
	v_fma_f16 v63, v108, s14, -v63
	v_fma_f16 v121, v96, s27, v118
	v_add_f16_e32 v63, v63, v90
	v_fma_f16 v90, v96, s15, v118
	v_mul_f16_e32 v118, 0xbb7b, v56
	v_add_f16_e32 v121, v121, v123
	v_add_f16_e32 v90, v90, v122
	v_fma_f16 v122, v108, s19, v118
	v_mul_f16_e32 v123, 0xb5ac, v120
	v_fma_f16 v118, v108, s19, -v118
	v_add_f16_e32 v122, v122, v125
	v_fma_f16 v125, v96, s28, v123
	v_add_f16_e32 v118, v118, v124
	v_fma_f16 v123, v96, s20, v123
	v_mul_f16_e32 v124, 0xb3a8, v56
	v_add_f16_e32 v125, v125, v127
	v_add_f16_e32 v123, v123, v126
	v_fma_f16 v126, v108, s23, v124
	v_mul_f16_e32 v127, 0xbbc4, v120
	v_fma_f16 v124, v108, s23, -v124
	v_add_f16_e32 v126, v126, v129
	;; [unrolled: 10-line block ×3, first 2 shown]
	v_fma_f16 v133, v96, s22, v131
	v_add_f16_e32 v128, v128, v132
	v_fma_f16 v131, v96, s26, v131
	v_mul_f16_e32 v132, 0x3bf1, v56
	v_add_f16_e32 v133, v133, v135
	v_add_f16_e32 v131, v131, v134
	v_fma_f16 v134, v108, s16, v132
	v_mul_f16_e32 v135, 0x2fb7, v120
	v_fma_f16 v132, v108, s16, -v132
	v_mul_f16_e32 v56, 0x3770, v56
	v_add_f16_e32 v134, v134, v137
	v_fma_f16 v137, v96, s18, v135
	v_add_f16_e32 v132, v132, v136
	v_fma_f16 v135, v96, s24, v135
	v_fma_f16 v136, v108, s6, v56
	v_mul_f16_e32 v120, 0x3b15, v120
	v_fma_f16 v56, v108, s6, -v56
	v_add_f16_e32 v135, v135, v138
	v_fma_f16 v138, v96, s7, v120
	v_add_f16_e32 v54, v56, v54
	v_fma_f16 v56, v96, s17, v120
	v_add_f16_e32 v96, v64, v55
	v_sub_f16_e32 v55, v64, v55
	v_add_f16_e32 v53, v56, v53
	v_add_f16_e32 v56, v97, v106
	v_mul_f16_e32 v64, 0xbbf1, v55
	v_sub_f16_e32 v97, v97, v106
	v_fma_f16 v106, v56, s16, v64
	v_add_f16_e32 v106, v106, v107
	v_mul_f16_e32 v107, 0x2fb7, v96
	v_fma_f16 v64, v56, s16, -v64
	v_add_f16_e32 v63, v64, v63
	v_fma_f16 v64, v97, s18, v107
	v_add_f16_e32 v64, v64, v90
	v_mul_f16_e32 v90, 0xb3a8, v55
	v_fma_f16 v108, v97, s24, v107
	v_fma_f16 v107, v56, s23, v90
	v_mul_f16_e32 v120, 0xbbc4, v96
	v_fma_f16 v90, v56, s23, -v90
	v_add_f16_e32 v108, v108, v121
	v_fma_f16 v121, v97, s29, v120
	v_add_f16_e32 v90, v90, v118
	v_fma_f16 v118, v97, s25, v120
	v_mul_f16_e32 v120, 0x3b7b, v55
	v_add_f16_e32 v107, v107, v122
	v_fma_f16 v122, v56, s19, v120
	v_fma_f16 v120, v56, s19, -v120
	v_add_f16_e32 v118, v118, v123
	v_mul_f16_e32 v123, 0xb5ac, v96
	v_add_f16_e32 v120, v120, v124
	v_mul_f16_e32 v124, 0x3770, v55
	v_add_f16_e32 v121, v121, v125
	v_add_f16_e32 v122, v122, v126
	v_fma_f16 v125, v97, s20, v123
	v_fma_f16 v123, v97, s28, v123
	;; [unrolled: 1-line block ×3, first 2 shown]
	v_fma_f16 v124, v56, s6, -v124
	v_add_f16_e32 v123, v123, v127
	v_mul_f16_e32 v127, 0x3b15, v96
	v_add_f16_e32 v124, v124, v128
	v_mul_f16_e32 v128, 0xba95, v55
	v_add_f16_e32 v125, v125, v129
	v_add_f16_e32 v126, v126, v130
	v_fma_f16 v129, v97, s7, v127
	v_fma_f16 v127, v97, s17, v127
	;; [unrolled: 1-line block ×3, first 2 shown]
	v_fma_f16 v128, v56, s14, -v128
	v_mul_f16_e32 v55, 0xb94e, v55
	v_add_f16_e32 v127, v127, v131
	v_mul_f16_e32 v131, 0x388b, v96
	v_add_f16_e32 v128, v128, v132
	v_fma_f16 v132, v56, s21, v55
	v_mul_f16_e32 v96, 0xb9fd, v96
	v_fma_f16 v55, v56, s21, -v55
	v_add_f16_e32 v54, v55, v54
	v_fma_f16 v55, v97, s22, v96
	v_add_f16_e32 v56, v61, v58
	v_sub_f16_e32 v58, v61, v58
	v_add_f16_e32 v53, v55, v53
	v_add_f16_e32 v55, v98, v104
	v_mul_f16_e32 v61, 0xbb7b, v58
	v_add_f16_e32 v129, v129, v133
	v_add_f16_e32 v130, v130, v134
	v_fma_f16 v133, v97, s27, v131
	v_fma_f16 v131, v97, s15, v131
	;; [unrolled: 1-line block ×3, first 2 shown]
	v_sub_f16_e32 v96, v98, v104
	v_fma_f16 v97, v55, s19, v61
	v_mul_f16_e32 v98, 0xb5ac, v56
	v_fma_f16 v61, v55, s19, -v61
	v_add_f16_e32 v61, v61, v63
	v_fma_f16 v63, v96, s20, v98
	v_add_f16_e32 v63, v63, v64
	v_mul_f16_e32 v64, 0x394e, v58
	v_add_f16_e32 v97, v97, v106
	v_fma_f16 v104, v96, s28, v98
	v_fma_f16 v98, v55, s21, v64
	v_mul_f16_e32 v106, 0xb9fd, v56
	v_fma_f16 v64, v55, s21, -v64
	v_add_f16_e32 v98, v98, v107
	v_fma_f16 v107, v96, s22, v106
	v_add_f16_e32 v64, v64, v90
	v_fma_f16 v90, v96, s26, v106
	v_mul_f16_e32 v106, 0x3770, v58
	v_add_f16_e32 v104, v104, v108
	v_fma_f16 v108, v55, s6, v106
	v_fma_f16 v106, v55, s6, -v106
	v_add_f16_e32 v90, v90, v118
	v_mul_f16_e32 v118, 0x3b15, v56
	v_add_f16_e32 v106, v106, v120
	v_mul_f16_e32 v120, 0xbbf1, v58
	v_add_f16_e32 v107, v107, v121
	v_add_f16_e32 v108, v108, v122
	v_fma_f16 v121, v96, s7, v118
	v_fma_f16 v118, v96, s17, v118
	;; [unrolled: 1-line block ×3, first 2 shown]
	v_fma_f16 v120, v55, s16, -v120
	v_add_f16_e32 v118, v118, v123
	v_mul_f16_e32 v123, 0x2fb7, v56
	v_add_f16_e32 v120, v120, v124
	v_mul_f16_e32 v124, 0x33a8, v58
	v_add_f16_e32 v121, v121, v125
	v_add_f16_e32 v122, v122, v126
	v_fma_f16 v125, v96, s24, v123
	v_fma_f16 v123, v96, s18, v123
	;; [unrolled: 1-line block ×3, first 2 shown]
	v_fma_f16 v124, v55, s23, -v124
	v_mul_f16_e32 v58, 0x3a95, v58
	v_add_f16_e32 v123, v123, v127
	v_mul_f16_e32 v127, 0xbbc4, v56
	v_add_f16_e32 v124, v124, v128
	v_fma_f16 v128, v55, s14, v58
	v_mul_f16_e32 v56, 0x388b, v56
	v_fma_f16 v55, v55, s14, -v58
	v_add_f16_e32 v126, v126, v130
	v_fma_f16 v130, v96, s15, v56
	v_add_f16_e32 v54, v55, v54
	v_fma_f16 v55, v96, s27, v56
	v_add_f16_e32 v56, v62, v57
	v_sub_f16_e32 v57, v62, v57
	v_add_f16_e32 v53, v55, v53
	v_add_f16_e32 v55, v99, v103
	v_mul_f16_e32 v62, 0xb94e, v57
	v_add_f16_e32 v125, v125, v129
	v_fma_f16 v129, v96, s25, v127
	v_fma_f16 v127, v96, s29, v127
	;; [unrolled: 1-line block ×3, first 2 shown]
	v_sub_f16_e32 v58, v99, v103
	v_add_f16_e32 v96, v96, v97
	v_mul_f16_e32 v97, 0xb9fd, v56
	v_fma_f16 v62, v55, s21, -v62
	v_add_f16_e32 v61, v62, v61
	v_fma_f16 v62, v58, s22, v97
	v_add_f16_e32 v62, v62, v63
	v_mul_f16_e32 v63, 0x3bf1, v57
	v_fma_f16 v99, v58, s26, v97
	v_fma_f16 v97, v55, s16, v63
	v_add_f16_e32 v97, v97, v98
	v_mul_f16_e32 v98, 0x2fb7, v56
	v_fma_f16 v63, v55, s16, -v63
	v_add_f16_e32 v63, v63, v64
	v_fma_f16 v64, v58, s24, v98
	v_add_f16_e32 v64, v64, v90
	v_mul_f16_e32 v90, 0xba95, v57
	v_fma_f16 v103, v58, s18, v98
	v_fma_f16 v98, v55, s14, v90
	v_fma_f16 v90, v55, s14, -v90
	v_add_f16_e32 v99, v99, v104
	v_mul_f16_e32 v104, 0x388b, v56
	v_add_f16_e32 v90, v90, v106
	v_mul_f16_e32 v106, 0x33a8, v57
	v_add_f16_e32 v103, v103, v107
	v_add_f16_e32 v98, v98, v108
	v_fma_f16 v107, v58, s27, v104
	v_fma_f16 v104, v58, s15, v104
	v_fma_f16 v108, v55, s23, v106
	v_fma_f16 v106, v55, s23, -v106
	v_add_f16_e32 v104, v104, v118
	v_mul_f16_e32 v118, 0xbbc4, v56
	v_add_f16_e32 v106, v106, v120
	v_mul_f16_e32 v120, 0x3770, v57
	v_add_f16_e32 v107, v107, v121
	v_add_f16_e32 v108, v108, v122
	v_fma_f16 v121, v58, s25, v118
	v_fma_f16 v118, v58, s29, v118
	;; [unrolled: 1-line block ×3, first 2 shown]
	v_fma_f16 v120, v55, s6, -v120
	v_mul_f16_e32 v57, 0xbb7b, v57
	v_add_f16_e32 v118, v118, v123
	v_mul_f16_e32 v123, 0x3b15, v56
	v_add_f16_e32 v120, v120, v124
	v_fma_f16 v124, v55, s19, v57
	v_mul_f16_e32 v56, 0xb5ac, v56
	v_fma_f16 v55, v55, s19, -v57
	v_add_f16_e32 v121, v121, v125
	v_add_f16_e32 v122, v122, v126
	v_fma_f16 v125, v58, s7, v123
	v_fma_f16 v123, v58, s17, v123
	;; [unrolled: 1-line block ×3, first 2 shown]
	v_add_f16_e32 v54, v55, v54
	v_fma_f16 v55, v58, s20, v56
	v_sub_f16_e32 v58, v59, v60
	v_add_f16_e32 v53, v55, v53
	v_add_f16_e32 v55, v100, v101
	;; [unrolled: 1-line block ×3, first 2 shown]
	v_mul_f16_e32 v59, 0xb3a8, v58
	v_fma_f16 v60, v55, s23, v59
	v_sub_f16_e32 v57, v100, v101
	v_add_f16_e32 v60, v60, v96
	v_mul_f16_e32 v96, 0xbbc4, v56
	v_fma_f16 v59, v55, s23, -v59
	v_add_f16_e32 v59, v59, v61
	v_fma_f16 v61, v57, s25, v96
	v_add_f16_e32 v61, v61, v62
	v_mul_f16_e32 v62, 0x3770, v58
	v_fma_f16 v100, v57, s29, v96
	v_fma_f16 v96, v55, s6, v62
	v_add_f16_e32 v96, v96, v97
	v_mul_f16_e32 v97, 0x3b15, v56
	v_fma_f16 v62, v55, s6, -v62
	v_add_f16_e32 v62, v62, v63
	v_fma_f16 v63, v57, s17, v97
	v_add_f16_e32 v63, v63, v64
	v_mul_f16_e32 v64, 0xb94e, v58
	v_add_f16_e32 v99, v100, v99
	v_fma_f16 v100, v57, s7, v97
	v_fma_f16 v97, v55, s21, v64
	v_add_f16_e32 v97, v97, v98
	v_mul_f16_e32 v98, 0xb9fd, v56
	v_fma_f16 v64, v55, s21, -v64
	v_fma_f16 v101, v57, s26, v98
	v_add_f16_e32 v64, v64, v90
	v_fma_f16 v90, v57, s22, v98
	v_mul_f16_e32 v98, 0x3a95, v58
	v_add_f16_e32 v100, v100, v103
	v_fma_f16 v103, v55, s14, v98
	v_fma_f16 v98, v55, s14, -v98
	v_add_f16_e32 v90, v90, v104
	v_mul_f16_e32 v104, 0x388b, v56
	v_add_f16_e32 v98, v98, v106
	v_mul_f16_e32 v106, 0xbb7b, v58
	v_add_f16_e32 v137, v137, v139
	v_add_f16_e32 v101, v101, v107
	;; [unrolled: 1-line block ×3, first 2 shown]
	v_fma_f16 v107, v57, s15, v104
	v_fma_f16 v104, v57, s27, v104
	;; [unrolled: 1-line block ×3, first 2 shown]
	v_fma_f16 v106, v55, s19, -v106
	v_mul_f16_e32 v58, 0x3bf1, v58
	v_add_f16_e32 v136, v136, v140
	v_add_f16_e32 v138, v138, v141
	;; [unrolled: 1-line block ×4, first 2 shown]
	v_mul_f16_e32 v118, 0xb5ac, v56
	v_add_f16_e32 v106, v106, v120
	v_fma_f16 v120, v55, s16, v58
	v_mul_f16_e32 v56, 0x2fb7, v56
	v_fma_f16 v55, v55, s16, -v58
	v_add_f16_e32 v132, v132, v136
	v_add_f16_e32 v134, v134, v138
	v_add_f16_e32 v129, v129, v133
	v_add_f16_e32 v54, v55, v54
	v_fma_f16 v55, v57, s24, v56
	v_add_f16_e32 v131, v131, v135
	v_add_f16_e32 v128, v128, v132
	;; [unrolled: 1-line block ×6, first 2 shown]
	v_fma_f16 v121, v57, s28, v118
	v_fma_f16 v122, v57, s18, v56
	v_add_f16_e32 v53, v55, v53
	v_pack_b32_f16 v55, v109, v119
	v_pack_b32_f16 v56, v60, v99
	v_add_f16_e32 v127, v127, v131
	v_add_f16_e32 v124, v124, v128
	;; [unrolled: 1-line block ×4, first 2 shown]
	s_waitcnt lgkmcnt(0)
	; wave barrier
	ds_write2_b32 v111, v55, v56 offset1:4
	v_pack_b32_f16 v55, v96, v100
	v_pack_b32_f16 v56, v97, v101
	v_add_f16_e32 v123, v123, v127
	v_fma_f16 v118, v57, s20, v118
	v_add_f16_e32 v120, v120, v124
	v_add_f16_e32 v122, v122, v126
	ds_write2_b32 v111, v55, v56 offset0:8 offset1:12
	v_pack_b32_f16 v55, v103, v107
	v_pack_b32_f16 v56, v108, v121
	v_add_f16_e32 v118, v118, v123
	ds_write2_b32 v111, v55, v56 offset0:16 offset1:20
	v_pack_b32_f16 v55, v120, v122
	v_pack_b32_f16 v53, v54, v53
	ds_write2_b32 v111, v55, v53 offset0:24 offset1:28
	v_pack_b32_f16 v53, v106, v118
	v_pack_b32_f16 v54, v98, v104
	;; [unrolled: 3-line block ×3, first 2 shown]
	ds_write2_b32 v111, v53, v54 offset0:40 offset1:44
	v_pack_b32_f16 v53, v59, v61
	ds_write_b32 v111, v53 offset:192
	s_and_saveexec_b64 s[4:5], s[2:3]
	s_cbranch_execz .LBB0_29
; %bb.28:
	v_mul_f16_sdwa v53, v4, v105 dst_sel:DWORD dst_unused:UNUSED_PAD src0_sel:WORD_1 src1_sel:DWORD
	v_mul_f16_sdwa v54, v11, v117 dst_sel:DWORD dst_unused:UNUSED_PAD src0_sel:WORD_1 src1_sel:DWORD
	;; [unrolled: 1-line block ×3, first 2 shown]
	v_fma_f16 v53, v4, v46, v53
	v_fma_f16 v54, v11, v116, v54
	v_mul_f16_sdwa v57, v11, v116 dst_sel:DWORD dst_unused:UNUSED_PAD src0_sel:WORD_1 src1_sel:DWORD
	v_mul_f16_sdwa v46, v4, v46 dst_sel:DWORD dst_unused:UNUSED_PAD src0_sel:WORD_1 src1_sel:DWORD
	;; [unrolled: 1-line block ×3, first 2 shown]
	v_fma_f16 v59, v10, v24, v59
	v_mul_f16_sdwa v24, v10, v24 dst_sel:DWORD dst_unused:UNUSED_PAD src0_sel:WORD_1 src1_sel:DWORD
	v_sub_f16_e32 v55, v53, v54
	v_fma_f16 v11, v11, v117, -v57
	v_fma_f16 v4, v4, v105, -v46
	v_fma_f16 v58, v5, v51, v58
	v_fma_f16 v10, v10, v115, -v24
	v_mul_f16_sdwa v24, v5, v51 dst_sel:DWORD dst_unused:UNUSED_PAD src0_sel:WORD_1 src1_sel:DWORD
	v_mul_f16_e32 v56, 0xb94e, v55
	v_add_f16_e32 v46, v11, v4
	v_sub_f16_e32 v60, v58, v59
	v_fma_f16 v5, v5, v95, -v24
	v_fma_f16 v57, v46, s21, v56
	v_mul_f16_e32 v61, 0x3bf1, v60
	v_add_f16_e32 v24, v10, v5
	v_add_f16_e32 v57, v65, v57
	v_fma_f16 v51, v24, s16, v61
	v_mul_f16_sdwa v62, v9, v114 dst_sel:DWORD dst_unused:UNUSED_PAD src0_sel:WORD_1 src1_sel:DWORD
	v_add_f16_e32 v51, v51, v57
	v_mul_f16_sdwa v57, v6, v94 dst_sel:DWORD dst_unused:UNUSED_PAD src0_sel:WORD_1 src1_sel:DWORD
	v_fma_f16 v62, v9, v23, v62
	v_mul_f16_sdwa v23, v9, v23 dst_sel:DWORD dst_unused:UNUSED_PAD src0_sel:WORD_1 src1_sel:DWORD
	v_fma_f16 v57, v6, v52, v57
	v_fma_f16 v9, v9, v114, -v23
	v_mul_f16_sdwa v23, v6, v52 dst_sel:DWORD dst_unused:UNUSED_PAD src0_sel:WORD_1 src1_sel:DWORD
	v_sub_f16_e32 v63, v57, v62
	v_fma_f16 v6, v6, v94, -v23
	v_mul_f16_e32 v64, 0xba95, v63
	v_add_f16_e32 v23, v9, v6
	v_fma_f16 v52, v23, s14, v64
	v_mul_f16_sdwa v90, v8, v113 dst_sel:DWORD dst_unused:UNUSED_PAD src0_sel:WORD_1 src1_sel:DWORD
	v_add_f16_e32 v51, v52, v51
	v_mul_f16_sdwa v52, v7, v92 dst_sel:DWORD dst_unused:UNUSED_PAD src0_sel:WORD_1 src1_sel:DWORD
	v_fma_f16 v90, v8, v44, v90
	v_mul_f16_sdwa v44, v8, v44 dst_sel:DWORD dst_unused:UNUSED_PAD src0_sel:WORD_1 src1_sel:DWORD
	v_fma_f16 v52, v7, v47, v52
	v_fma_f16 v8, v8, v113, -v44
	v_mul_f16_sdwa v44, v7, v47 dst_sel:DWORD dst_unused:UNUSED_PAD src0_sel:WORD_1 src1_sel:DWORD
	v_sub_f16_e32 v94, v52, v90
	v_fma_f16 v7, v7, v92, -v44
	v_mul_f16_e32 v95, 0x33a8, v94
	;; [unrolled: 13-line block ×3, first 2 shown]
	v_add_f16_e32 v43, v3, v0
	v_fma_f16 v48, v43, s6, v97
	v_add_f16_e32 v47, v48, v47
	v_mul_f16_sdwa v48, v1, v66 dst_sel:DWORD dst_unused:UNUSED_PAD src0_sel:WORD_1 src1_sel:DWORD
	v_mul_f16_sdwa v91, v2, v93 dst_sel:DWORD dst_unused:UNUSED_PAD src0_sel:WORD_1 src1_sel:DWORD
	v_fma_f16 v48, v1, v49, v48
	v_fma_f16 v91, v2, v50, v91
	v_mul_f16_sdwa v50, v2, v50 dst_sel:DWORD dst_unused:UNUSED_PAD src0_sel:WORD_1 src1_sel:DWORD
	v_mul_f16_sdwa v49, v1, v49 dst_sel:DWORD dst_unused:UNUSED_PAD src0_sel:WORD_1 src1_sel:DWORD
	v_sub_f16_e32 v98, v48, v91
	v_fma_f16 v2, v2, v93, -v50
	v_fma_f16 v1, v1, v66, -v49
	v_mul_f16_e32 v99, 0xbb7b, v98
	v_add_f16_e32 v49, v2, v1
	v_fma_f16 v50, v49, s19, v99
	v_sub_f16_e32 v66, v4, v11
	v_add_f16_e32 v47, v50, v47
	v_add_f16_e32 v50, v54, v53
	v_mul_f16_e32 v93, 0xb94e, v66
	v_sub_f16_e32 v102, v5, v10
	v_fma_f16 v100, v50, s21, -v93
	v_add_f16_e32 v101, v59, v58
	v_mul_f16_e32 v103, 0x3bf1, v102
	v_add_f16_e32 v100, v45, v100
	v_fma_f16 v104, v101, s16, -v103
	v_sub_f16_e32 v105, v6, v9
	v_add_f16_e32 v100, v104, v100
	v_add_f16_e32 v104, v62, v57
	v_mul_f16_e32 v106, 0xba95, v105
	v_fma_f16 v107, v104, s14, -v106
	v_sub_f16_e32 v108, v7, v8
	v_add_f16_e32 v100, v107, v100
	v_add_f16_e32 v107, v90, v52
	v_mul_f16_e32 v109, 0x33a8, v108
	;; [unrolled: 5-line block ×3, first 2 shown]
	v_fma_f16 v115, v111, s6, -v114
	v_sub_f16_e32 v116, v1, v2
	v_fma_f16 v56, v46, s21, -v56
	v_add_f16_e32 v100, v115, v100
	v_add_f16_e32 v115, v91, v48
	v_mul_f16_e32 v117, 0xbb7b, v116
	v_add_f16_e32 v56, v65, v56
	v_fma_f16 v61, v24, s16, -v61
	v_fma_f16 v118, v115, s19, -v117
	v_add_f16_e32 v56, v61, v56
	v_fma_f16 v61, v23, s14, -v64
	v_add_f16_e32 v100, v118, v100
	v_mul_f16_e32 v118, 0xb3a8, v55
	v_add_f16_e32 v56, v61, v56
	v_fma_f16 v61, v44, s23, -v95
	v_fma_f16 v119, v46, s23, v118
	v_mul_f16_e32 v120, 0x3770, v60
	v_add_f16_e32 v56, v61, v56
	v_fma_f16 v61, v43, s6, -v97
	v_add_f16_e32 v119, v65, v119
	v_fma_f16 v121, v24, s6, v120
	v_add_f16_e32 v56, v61, v56
	v_fma_f16 v61, v49, s19, -v99
	v_add_f16_e32 v119, v121, v119
	v_mul_f16_e32 v121, 0xb94e, v63
	v_add_f16_e32 v56, v61, v56
	v_fma_f16 v61, v50, s21, v93
	v_fma_f16 v122, v23, s21, v121
	v_add_f16_e32 v61, v45, v61
	v_fma_f16 v64, v101, s16, v103
	v_add_f16_e32 v119, v122, v119
	v_mul_f16_e32 v122, 0x3a95, v94
	v_add_f16_e32 v61, v64, v61
	v_fma_f16 v64, v104, s14, v106
	v_fma_f16 v123, v44, s14, v122
	v_add_f16_e32 v61, v64, v61
	v_fma_f16 v64, v107, s23, v109
	;; [unrolled: 7-line block ×3, first 2 shown]
	v_add_f16_e32 v119, v124, v119
	v_mul_f16_e32 v124, 0x3bf1, v98
	v_add_f16_e32 v61, v64, v61
	v_mul_f16_e32 v64, 0xb5ac, v46
	v_fma_f16 v125, v49, s16, v124
	v_fma_f16 v118, v46, s23, -v118
	v_fma_f16 v93, v55, s28, v64
	v_mul_f16_e32 v95, 0xb9fd, v24
	v_add_f16_e32 v119, v125, v119
	v_mul_f16_e32 v125, 0xb3a8, v66
	v_add_f16_e32 v118, v65, v118
	v_fma_f16 v120, v24, s6, -v120
	v_add_f16_e32 v93, v65, v93
	v_fma_f16 v97, v60, s22, v95
	v_fma_f16 v126, v50, s23, -v125
	v_mul_f16_e32 v127, 0x3770, v102
	v_add_f16_e32 v118, v120, v118
	v_fma_f16 v120, v23, s21, -v121
	v_add_f16_e32 v93, v97, v93
	v_mul_f16_e32 v97, 0x3b15, v23
	v_add_f16_e32 v126, v45, v126
	v_fma_f16 v128, v101, s6, -v127
	v_add_f16_e32 v118, v120, v118
	v_fma_f16 v120, v44, s14, -v122
	v_fma_f16 v99, v63, s7, v97
	v_add_f16_e32 v126, v128, v126
	v_mul_f16_e32 v128, 0xb94e, v105
	v_add_f16_e32 v118, v120, v118
	v_fma_f16 v120, v43, s19, -v123
	v_add_f16_e32 v93, v99, v93
	v_mul_f16_e32 v99, 0x2fb7, v44
	v_fma_f16 v129, v104, s21, -v128
	v_add_f16_e32 v118, v120, v118
	v_fma_f16 v120, v49, s16, -v124
	v_fma_f16 v103, v94, s24, v99
	v_add_f16_e32 v126, v129, v126
	v_mul_f16_e32 v129, 0x3a95, v108
	v_add_f16_e32 v118, v120, v118
	v_fma_f16 v120, v50, s23, v125
	v_add_f16_e32 v93, v103, v93
	v_mul_f16_e32 v103, 0xbbc4, v43
	v_fma_f16 v130, v107, s14, -v129
	v_add_f16_e32 v120, v45, v120
	v_fma_f16 v121, v101, s6, v127
	v_fma_f16 v106, v96, s25, v103
	v_add_f16_e32 v126, v130, v126
	v_mul_f16_e32 v130, 0xbb7b, v113
	v_add_f16_e32 v120, v121, v120
	v_fma_f16 v121, v104, s21, v128
	v_add_f16_e32 v93, v106, v93
	v_mul_f16_e32 v106, 0x388b, v49
	v_fma_f16 v131, v111, s19, -v130
	v_add_f16_e32 v120, v121, v120
	v_fma_f16 v121, v107, s14, v129
	v_fma_f16 v109, v98, s15, v106
	v_add_f16_e32 v126, v131, v126
	v_mul_f16_e32 v131, 0x3bf1, v116
	v_add_f16_e32 v120, v121, v120
	v_fma_f16 v121, v111, s19, v130
	v_add_f16_e32 v93, v109, v93
	v_mul_f16_e32 v109, 0xbb7b, v66
	v_add_f16_e32 v120, v121, v120
	v_fma_f16 v121, v115, s16, v131
	v_fma_f16 v114, v50, s19, v109
	v_mul_f16_e32 v117, 0x394e, v102
	v_add_f16_e32 v120, v121, v120
	v_add_f16_e32 v114, v45, v114
	v_fma_f16 v121, v101, s21, v117
	v_add_f16_e32 v114, v121, v114
	v_mul_f16_e32 v121, 0x3770, v105
	v_fma_f16 v122, v104, s6, v121
	v_add_f16_e32 v114, v122, v114
	v_mul_f16_e32 v122, 0xbbf1, v108
	;; [unrolled: 3-line block ×5, first 2 shown]
	v_fma_f16 v127, v55, s24, v125
	v_mul_f16_e32 v128, 0xbbc4, v24
	v_add_f16_e32 v127, v65, v127
	v_fma_f16 v129, v60, s29, v128
	v_add_f16_e32 v127, v129, v127
	v_mul_f16_e32 v129, 0xb5ac, v23
	v_add_f16_e32 v4, v4, v65
	v_fma_f16 v130, v63, s20, v129
	v_add_f16_e32 v4, v5, v4
	v_add_f16_e32 v127, v130, v127
	v_mul_f16_e32 v130, 0x3b15, v44
	v_add_f16_e32 v4, v6, v4
	v_fma_f16 v132, v115, s16, -v131
	v_fma_f16 v131, v94, s7, v130
	v_add_f16_e32 v4, v7, v4
	v_add_f16_e32 v127, v131, v127
	v_mul_f16_e32 v131, 0x388b, v43
	v_add_f16_e32 v0, v0, v4
	v_add_f16_e32 v126, v132, v126
	v_fma_f16 v132, v96, s27, v131
	v_add_f16_e32 v0, v1, v0
	v_fma_f16 v1, v55, s20, v64
	v_add_f16_e32 v127, v132, v127
	v_mul_f16_e32 v132, 0xb9fd, v49
	v_add_f16_e32 v0, v2, v0
	v_add_f16_e32 v1, v65, v1
	v_fma_f16 v2, v60, s26, v95
	v_fma_f16 v133, v98, s26, v132
	v_add_f16_e32 v1, v2, v1
	v_fma_f16 v2, v63, s17, v97
	v_add_f16_e32 v127, v133, v127
	v_mul_f16_e32 v133, 0xbbf1, v66
	v_add_f16_e32 v1, v2, v1
	v_fma_f16 v2, v94, s18, v99
	v_fma_f16 v134, v50, s16, v133
	v_mul_f16_e32 v135, 0xb3a8, v102
	v_add_f16_e32 v1, v2, v1
	v_fma_f16 v2, v96, s29, v103
	v_add_f16_e32 v134, v45, v134
	v_fma_f16 v136, v101, s23, v135
	;; [unrolled: 2-line block ×3, first 2 shown]
	v_add_f16_e32 v134, v136, v134
	v_mul_f16_e32 v136, 0x3b7b, v105
	v_add_f16_e32 v1, v2, v1
	v_fma_f16 v2, v50, s19, -v109
	v_fma_f16 v137, v104, s19, v136
	v_add_f16_e32 v0, v3, v0
	v_add_f16_e32 v2, v45, v2
	v_fma_f16 v3, v101, s21, -v117
	v_add_f16_e32 v134, v137, v134
	v_mul_f16_e32 v137, 0x3770, v108
	v_add_f16_e32 v2, v3, v2
	v_fma_f16 v3, v104, s6, -v121
	v_fma_f16 v138, v107, s6, v137
	v_add_f16_e32 v2, v3, v2
	v_fma_f16 v3, v107, s16, -v122
	v_add_f16_e32 v134, v138, v134
	v_mul_f16_e32 v138, 0xba95, v113
	v_add_f16_e32 v2, v3, v2
	v_fma_f16 v3, v111, s23, -v123
	v_fma_f16 v139, v111, s14, v138
	v_add_f16_e32 v2, v3, v2
	v_fma_f16 v3, v115, s14, -v124
	v_add_f16_e32 v134, v139, v134
	v_mul_f16_e32 v139, 0xb94e, v116
	v_add_f16_e32 v2, v3, v2
	v_fma_f16 v3, v55, s18, v125
	v_fma_f16 v140, v115, s21, v139
	v_add_f16_e32 v3, v65, v3
	v_fma_f16 v4, v60, s25, v128
	v_add_f16_e32 v134, v140, v134
	v_mul_f16_e32 v140, 0x388b, v46
	v_add_f16_e32 v3, v4, v3
	v_fma_f16 v4, v63, s28, v129
	v_fma_f16 v141, v55, s27, v140
	v_mul_f16_e32 v142, 0xb5ac, v24
	v_add_f16_e32 v3, v4, v3
	v_fma_f16 v4, v94, s17, v130
	v_add_f16_e32 v141, v65, v141
	v_fma_f16 v143, v60, s28, v142
	;; [unrolled: 2-line block ×3, first 2 shown]
	v_add_f16_e32 v141, v143, v141
	v_mul_f16_e32 v143, 0xbbc4, v23
	v_add_f16_e32 v3, v4, v3
	v_fma_f16 v4, v98, s22, v132
	v_fma_f16 v144, v63, s29, v143
	v_add_f16_e32 v3, v4, v3
	v_fma_f16 v4, v50, s16, -v133
	v_add_f16_e32 v141, v144, v141
	v_mul_f16_e32 v144, 0xb9fd, v44
	v_add_f16_e32 v4, v45, v4
	v_fma_f16 v5, v101, s23, -v135
	v_fma_f16 v145, v94, s22, v144
	v_add_f16_e32 v4, v5, v4
	v_fma_f16 v5, v104, s19, -v136
	v_add_f16_e32 v141, v145, v141
	v_mul_f16_e32 v145, 0x2fb7, v43
	v_add_f16_e32 v4, v5, v4
	v_fma_f16 v5, v107, s6, -v137
	;; [unrolled: 7-line block ×3, first 2 shown]
	v_fma_f16 v147, v98, s7, v146
	v_add_f16_e32 v4, v5, v4
	v_fma_f16 v5, v55, s15, v140
	v_add_f16_e32 v141, v147, v141
	v_mul_f16_e32 v147, 0xba95, v66
	v_add_f16_e32 v5, v65, v5
	v_fma_f16 v6, v60, s20, v142
	v_fma_f16 v148, v50, s14, v147
	v_mul_f16_e32 v149, 0xbb7b, v102
	v_add_f16_e32 v5, v6, v5
	v_fma_f16 v6, v63, s25, v143
	v_add_f16_e32 v148, v45, v148
	v_fma_f16 v150, v101, s19, v149
	v_add_f16_e32 v5, v6, v5
	v_fma_f16 v6, v94, s26, v144
	v_add_f16_e32 v148, v150, v148
	v_mul_f16_e32 v150, 0xb3a8, v105
	v_add_f16_e32 v5, v6, v5
	v_fma_f16 v6, v96, s24, v145
	v_fma_f16 v151, v104, s23, v150
	v_add_f16_e32 v5, v6, v5
	v_fma_f16 v6, v98, s17, v146
	v_add_f16_e32 v148, v151, v148
	v_mul_f16_e32 v151, 0x394e, v108
	v_add_f16_e32 v5, v6, v5
	v_fma_f16 v6, v50, s14, -v147
	v_fma_f16 v152, v107, s21, v151
	v_add_f16_e32 v6, v45, v6
	v_fma_f16 v7, v101, s19, -v149
	v_add_f16_e32 v148, v152, v148
	v_mul_f16_e32 v152, 0x3bf1, v113
	v_add_f16_e32 v6, v7, v6
	v_fma_f16 v7, v104, s23, -v150
	v_fma_f16 v153, v111, s16, v152
	v_add_f16_e32 v6, v7, v6
	v_fma_f16 v7, v107, s21, -v151
	v_add_f16_e32 v148, v153, v148
	v_mul_f16_e32 v153, 0x3770, v116
	v_add_f16_e32 v6, v7, v6
	v_fma_f16 v7, v111, s16, -v152
	v_mul_f16_e32 v46, 0x3b15, v46
	v_add_f16_e32 v6, v7, v6
	v_fma_f16 v7, v115, s6, -v153
	v_fma_f16 v154, v115, s6, v153
	v_mul_f16_e32 v24, 0x388b, v24
	v_add_f16_e32 v6, v7, v6
	v_fma_f16 v7, v55, s7, v46
	v_add_f16_e32 v148, v154, v148
	v_fma_f16 v154, v55, s17, v46
	v_mul_f16_e32 v23, 0x2fb7, v23
	v_add_f16_e32 v0, v8, v0
	v_add_f16_e32 v7, v65, v7
	v_fma_f16 v8, v60, s15, v24
	v_add_f16_e32 v154, v65, v154
	v_fma_f16 v155, v60, s27, v24
	v_mul_f16_e32 v44, 0xb5ac, v44
	v_add_f16_e32 v53, v45, v53
	v_add_f16_e32 v7, v8, v7
	v_fma_f16 v8, v63, s18, v23
	v_add_f16_e32 v154, v155, v154
	v_fma_f16 v155, v63, s24, v23
	v_mul_f16_e32 v43, 0xb9fd, v43
	v_add_f16_e32 v53, v58, v53
	v_add_f16_e32 v7, v8, v7
	v_fma_f16 v8, v94, s20, v44
	v_add_f16_e32 v154, v155, v154
	v_fma_f16 v155, v94, s28, v44
	v_mul_f16_e32 v49, 0xbbc4, v49
	v_add_f16_e32 v53, v57, v53
	v_add_f16_e32 v7, v8, v7
	v_fma_f16 v8, v96, s22, v43
	v_add_f16_e32 v154, v155, v154
	v_fma_f16 v155, v96, s26, v43
	v_mul_f16_e32 v66, 0xb770, v66
	v_add_f16_e32 v52, v52, v53
	v_add_f16_e32 v7, v8, v7
	v_fma_f16 v8, v98, s25, v49
	v_add_f16_e32 v154, v155, v154
	v_fma_f16 v155, v98, s29, v49
	v_mul_f16_e32 v102, 0xba95, v102
	v_add_f16_e32 v51, v51, v52
	v_add_f16_e32 v7, v8, v7
	v_fma_f16 v8, v50, s6, -v66
	v_add_f16_e32 v154, v155, v154
	v_fma_f16 v155, v50, s6, v66
	v_mul_f16_e32 v105, 0xbbf1, v105
	v_add_f16_e32 v48, v48, v51
	v_add_f16_e32 v0, v9, v0
	;; [unrolled: 1-line block ×3, first 2 shown]
	v_fma_f16 v9, v101, s14, -v102
	v_add_f16_e32 v155, v45, v155
	v_fma_f16 v156, v101, s14, v102
	v_mul_f16_e32 v108, 0xbb7b, v108
	v_add_f16_e32 v48, v91, v48
	v_add_f16_e32 v8, v9, v8
	v_fma_f16 v9, v104, s16, -v105
	v_add_f16_e32 v155, v156, v155
	v_fma_f16 v156, v104, s16, v105
	v_mul_f16_e32 v113, 0xb94e, v113
	v_add_f16_e32 v48, v92, v48
	v_add_f16_e32 v8, v9, v8
	;; [unrolled: 6-line block ×3, first 2 shown]
	v_fma_f16 v9, v111, s21, -v113
	v_add_f16_e32 v155, v156, v155
	v_fma_f16 v156, v111, s21, v113
	v_add_f16_e32 v48, v62, v48
	v_add_f16_e32 v8, v9, v8
	v_fma_f16 v9, v115, s23, -v116
	v_add_f16_e32 v155, v156, v155
	v_fma_f16 v156, v115, s23, v116
	v_add_f16_e32 v48, v59, v48
	v_add_f16_e32 v0, v10, v0
	;; [unrolled: 1-line block ×3, first 2 shown]
	v_mul_u32_u24_e32 v9, 52, v110
	v_add_f16_e32 v155, v156, v155
	v_add_f16_e32 v48, v54, v48
	;; [unrolled: 1-line block ×3, first 2 shown]
	v_or_b32_e32 v9, v9, v89
	v_lshlrev_b32_e32 v9, 2, v9
	v_pack_b32_f16 v0, v48, v0
	v_pack_b32_f16 v10, v155, v154
	ds_write2_b32 v9, v0, v10 offset1:4
	v_pack_b32_f16 v0, v148, v141
	v_pack_b32_f16 v10, v134, v127
	ds_write2_b32 v9, v0, v10 offset0:8 offset1:12
	v_pack_b32_f16 v0, v114, v93
	v_pack_b32_f16 v10, v61, v56
	ds_write2_b32 v9, v0, v10 offset0:16 offset1:20
	;; [unrolled: 3-line block ×5, first 2 shown]
	v_pack_b32_f16 v0, v8, v7
	ds_write_b32 v9, v0 offset:192
.LBB0_29:
	s_or_b64 exec, exec, s[4:5]
	s_waitcnt lgkmcnt(0)
	; wave barrier
	s_waitcnt lgkmcnt(0)
	ds_read2_b32 v[2:3], v67 offset0:104 offset1:156
	v_add_u32_e32 v1, 0x400, v67
	ds_read2_b32 v[8:9], v1 offset0:56 offset1:108
	ds_read2_b32 v[10:11], v1 offset0:160 offset1:212
	v_add_u32_e32 v7, 0x800, v67
	ds_read2_b32 v[23:24], v7 offset0:112 offset1:164
	ds_read2_b32 v[43:44], v67 offset1:52
	s_waitcnt lgkmcnt(4)
	v_lshrrev_b32_e32 v4, 16, v3
	v_mul_f16_sdwa v95, v12, v4 dst_sel:DWORD dst_unused:UNUSED_PAD src0_sel:WORD_1 src1_sel:DWORD
	s_waitcnt lgkmcnt(3)
	v_lshrrev_b32_e32 v55, 16, v8
	v_add_u32_e32 v5, 0xa00, v67
	v_fma_f16 v95, v12, v3, v95
	v_mul_f16_sdwa v3, v12, v3 dst_sel:DWORD dst_unused:UNUSED_PAD src0_sel:WORD_1 src1_sel:DWORD
	ds_read2_b32 v[45:46], v5 offset0:88 offset1:140
	v_fma_f16 v3, v12, v4, -v3
	v_mul_f16_sdwa v4, v13, v55 dst_sel:DWORD dst_unused:UNUSED_PAD src0_sel:WORD_1 src1_sel:DWORD
	s_waitcnt lgkmcnt(3)
	v_lshrrev_b32_e32 v56, 16, v11
	v_add_u32_e32 v0, 0xc00, v67
	v_fma_f16 v4, v13, v8, v4
	v_mul_f16_sdwa v8, v13, v8 dst_sel:DWORD dst_unused:UNUSED_PAD src0_sel:WORD_1 src1_sel:DWORD
	ds_read2_b32 v[47:48], v0 offset0:168 offset1:220
	v_fma_f16 v8, v13, v55, -v8
	;; [unrolled: 8-line block ×3, first 2 shown]
	v_mul_f16_sdwa v56, v15, v57 dst_sel:DWORD dst_unused:UNUSED_PAD src0_sel:WORD_1 src1_sel:DWORD
	s_waitcnt lgkmcnt(2)
	v_lshrrev_b32_e32 v58, 16, v46
	v_fma_f16 v56, v15, v23, v56
	v_mul_f16_sdwa v23, v15, v23 dst_sel:DWORD dst_unused:UNUSED_PAD src0_sel:WORD_1 src1_sel:DWORD
	v_fma_f16 v23, v15, v57, -v23
	v_mul_f16_sdwa v57, v25, v58 dst_sel:DWORD dst_unused:UNUSED_PAD src0_sel:WORD_1 src1_sel:DWORD
	s_waitcnt lgkmcnt(1)
	v_lshrrev_b32_e32 v59, 16, v47
	v_fma_f16 v57, v25, v46, v57
	v_mul_f16_sdwa v46, v25, v46 dst_sel:DWORD dst_unused:UNUSED_PAD src0_sel:WORD_1 src1_sel:DWORD
	ds_read2_b32 v[51:52], v7 offset0:8 offset1:60
	v_fma_f16 v46, v25, v58, -v46
	v_mul_f16_sdwa v58, v26, v59 dst_sel:DWORD dst_unused:UNUSED_PAD src0_sel:WORD_1 src1_sel:DWORD
	s_waitcnt lgkmcnt(1)
	v_lshrrev_b32_e32 v60, 16, v49
	v_fma_f16 v58, v26, v47, v58
	v_mul_f16_sdwa v47, v26, v47 dst_sel:DWORD dst_unused:UNUSED_PAD src0_sel:WORD_1 src1_sel:DWORD
	v_fma_f16 v47, v26, v59, -v47
	v_mul_f16_sdwa v59, v12, v60 dst_sel:DWORD dst_unused:UNUSED_PAD src0_sel:WORD_1 src1_sel:DWORD
	v_lshrrev_b32_e32 v61, 16, v9
	v_fma_f16 v59, v12, v49, v59
	v_mul_f16_sdwa v49, v12, v49 dst_sel:DWORD dst_unused:UNUSED_PAD src0_sel:WORD_1 src1_sel:DWORD
	ds_read2_b32 v[53:54], v0 offset0:64 offset1:116
	v_fma_f16 v12, v12, v60, -v49
	v_mul_f16_sdwa v49, v13, v61 dst_sel:DWORD dst_unused:UNUSED_PAD src0_sel:WORD_1 src1_sel:DWORD
	s_waitcnt lgkmcnt(1)
	v_lshrrev_b32_e32 v62, 16, v51
	v_fma_f16 v49, v13, v9, v49
	v_mul_f16_sdwa v9, v13, v9 dst_sel:DWORD dst_unused:UNUSED_PAD src0_sel:WORD_1 src1_sel:DWORD
	v_fma_f16 v9, v13, v61, -v9
	v_mul_f16_sdwa v13, v14, v62 dst_sel:DWORD dst_unused:UNUSED_PAD src0_sel:WORD_1 src1_sel:DWORD
	v_lshrrev_b32_e32 v63, 16, v24
	v_fma_f16 v13, v14, v51, v13
	v_mul_f16_sdwa v51, v14, v51 dst_sel:DWORD dst_unused:UNUSED_PAD src0_sel:WORD_1 src1_sel:DWORD
	v_fma_f16 v14, v14, v62, -v51
	v_mul_f16_sdwa v51, v15, v63 dst_sel:DWORD dst_unused:UNUSED_PAD src0_sel:WORD_1 src1_sel:DWORD
	s_waitcnt lgkmcnt(0)
	v_lshrrev_b32_e32 v64, 16, v53
	v_fma_f16 v51, v15, v24, v51
	v_mul_f16_sdwa v24, v15, v24 dst_sel:DWORD dst_unused:UNUSED_PAD src0_sel:WORD_1 src1_sel:DWORD
	v_fma_f16 v15, v15, v63, -v24
	v_mul_f16_sdwa v24, v25, v64 dst_sel:DWORD dst_unused:UNUSED_PAD src0_sel:WORD_1 src1_sel:DWORD
	v_lshrrev_b32_e32 v65, 16, v48
	v_fma_f16 v24, v25, v53, v24
	v_mul_f16_sdwa v53, v25, v53 dst_sel:DWORD dst_unused:UNUSED_PAD src0_sel:WORD_1 src1_sel:DWORD
	v_fma_f16 v25, v25, v64, -v53
	v_mul_f16_sdwa v53, v26, v65 dst_sel:DWORD dst_unused:UNUSED_PAD src0_sel:WORD_1 src1_sel:DWORD
	;; [unrolled: 5-line block ×4, first 2 shown]
	v_lshrrev_b32_e32 v91, 16, v52
	v_fma_f16 v50, v17, v10, v50
	v_mul_f16_sdwa v10, v17, v10 dst_sel:DWORD dst_unused:UNUSED_PAD src0_sel:WORD_1 src1_sel:DWORD
	ds_read_b32 v89, v67 offset:4160
	v_fma_f16 v10, v17, v90, -v10
	v_mul_f16_sdwa v17, v18, v91 dst_sel:DWORD dst_unused:UNUSED_PAD src0_sel:WORD_1 src1_sel:DWORD
	v_lshrrev_b32_e32 v92, 16, v45
	v_fma_f16 v17, v18, v52, v17
	v_mul_f16_sdwa v52, v18, v52 dst_sel:DWORD dst_unused:UNUSED_PAD src0_sel:WORD_1 src1_sel:DWORD
	v_fma_f16 v18, v18, v91, -v52
	v_mul_f16_sdwa v52, v19, v92 dst_sel:DWORD dst_unused:UNUSED_PAD src0_sel:WORD_1 src1_sel:DWORD
	v_lshrrev_b32_e32 v93, 16, v54
	v_fma_f16 v52, v19, v45, v52
	v_mul_f16_sdwa v45, v19, v45 dst_sel:DWORD dst_unused:UNUSED_PAD src0_sel:WORD_1 src1_sel:DWORD
	v_fma_f16 v19, v19, v92, -v45
	v_mul_f16_sdwa v45, v27, v93 dst_sel:DWORD dst_unused:UNUSED_PAD src0_sel:WORD_1 src1_sel:DWORD
	s_waitcnt lgkmcnt(0)
	v_lshrrev_b32_e32 v94, 16, v89
	v_fma_f16 v45, v27, v54, v45
	v_mul_f16_sdwa v54, v27, v54 dst_sel:DWORD dst_unused:UNUSED_PAD src0_sel:WORD_1 src1_sel:DWORD
	v_fma_f16 v27, v27, v93, -v54
	v_mul_f16_sdwa v54, v28, v94 dst_sel:DWORD dst_unused:UNUSED_PAD src0_sel:WORD_1 src1_sel:DWORD
	v_mul_f16_sdwa v60, v28, v89 dst_sel:DWORD dst_unused:UNUSED_PAD src0_sel:WORD_1 src1_sel:DWORD
	v_fma_f16 v54, v28, v89, v54
	v_fma_f16 v28, v28, v94, -v60
	v_add_f16_e32 v60, v95, v58
	v_add_f16_e32 v61, v3, v47
	v_sub_f16_e32 v3, v3, v47
	v_add_f16_e32 v47, v4, v57
	v_add_f16_e32 v62, v8, v46
	v_sub_f16_e32 v58, v95, v58
	v_sub_f16_e32 v4, v4, v57
	;; [unrolled: 1-line block ×3, first 2 shown]
	v_add_f16_e32 v46, v55, v56
	v_add_f16_e32 v57, v11, v23
	v_sub_f16_e32 v55, v56, v55
	v_sub_f16_e32 v11, v23, v11
	v_add_f16_e32 v23, v47, v60
	v_add_f16_e32 v56, v62, v61
	v_sub_f16_e32 v63, v47, v60
	v_sub_f16_e32 v64, v62, v61
	;; [unrolled: 1-line block ×6, first 2 shown]
	v_add_f16_e32 v65, v55, v4
	v_add_f16_e32 v66, v11, v8
	v_sub_f16_e32 v89, v55, v4
	v_sub_f16_e32 v90, v11, v8
	v_sub_f16_e32 v4, v4, v58
	v_sub_f16_e32 v8, v8, v3
	v_add_f16_e32 v23, v46, v23
	v_add_f16_e32 v46, v57, v56
	v_sub_f16_e32 v55, v58, v55
	v_sub_f16_e32 v11, v3, v11
	v_add_f16_e32 v56, v65, v58
	v_add_f16_e32 v3, v66, v3
	;; [unrolled: 1-line block ×3, first 2 shown]
	v_add_f16_sdwa v43, v43, v46 dst_sel:DWORD dst_unused:UNUSED_PAD src0_sel:WORD_1 src1_sel:DWORD
	v_mul_f16_e32 v58, 0x3a52, v60
	v_mul_f16_e32 v60, 0x3a52, v61
	s_movk_i32 s2, 0x2b26
	v_mul_f16_e32 v61, 0x2b26, v47
	v_mul_f16_e32 v65, 0x2b26, v62
	;; [unrolled: 1-line block ×4, first 2 shown]
	s_mov_b32 s3, 0xbb00
	v_mul_f16_e32 v90, 0xbb00, v4
	v_mul_f16_e32 v91, 0xbb00, v8
	s_mov_b32 s4, 0xbcab
	s_movk_i32 s5, 0x39e0
	s_mov_b32 s6, 0xb9e0
	s_mov_b32 s7, 0xb574
	s_movk_i32 s14, 0x3574
	v_fma_f16 v23, v23, s4, v57
	v_fma_f16 v46, v46, s4, v43
	;; [unrolled: 1-line block ×4, first 2 shown]
	v_fma_f16 v61, v63, s5, -v61
	v_fma_f16 v65, v64, s5, -v65
	;; [unrolled: 1-line block ×4, first 2 shown]
	v_fma_f16 v63, v55, s7, v66
	v_fma_f16 v64, v11, s7, v89
	v_fma_f16 v8, v8, s3, -v89
	v_fma_f16 v55, v55, s14, -v90
	;; [unrolled: 1-line block ×3, first 2 shown]
	s_mov_b32 s15, 0xb70e
	v_fma_f16 v4, v4, s3, -v66
	v_add_f16_e32 v47, v47, v23
	v_add_f16_e32 v62, v62, v46
	;; [unrolled: 1-line block ×6, first 2 shown]
	v_fma_f16 v58, v56, s15, v63
	v_fma_f16 v60, v3, s15, v64
	;; [unrolled: 1-line block ×6, first 2 shown]
	v_add_f16_e32 v11, v60, v47
	v_sub_f16_e32 v56, v62, v58
	v_add_f16_e32 v63, v3, v23
	v_sub_f16_e32 v64, v46, v55
	v_sub_f16_e32 v3, v23, v3
	v_add_f16_e32 v23, v55, v46
	v_sub_f16_e32 v46, v47, v60
	v_add_f16_e32 v47, v58, v62
	v_add_f16_e32 v55, v59, v53
	;; [unrolled: 1-line block ×3, first 2 shown]
	v_sub_f16_e32 v53, v59, v53
	v_sub_f16_e32 v12, v12, v26
	v_add_f16_e32 v26, v49, v24
	v_add_f16_e32 v59, v9, v25
	v_sub_f16_e32 v24, v49, v24
	v_sub_f16_e32 v9, v9, v25
	v_add_f16_e32 v25, v13, v51
	v_add_f16_e32 v49, v14, v15
	;; [unrolled: 4-line block ×3, first 2 shown]
	v_sub_f16_e32 v66, v61, v8
	v_add_f16_e32 v89, v4, v65
	v_add_f16_e32 v8, v8, v61
	v_sub_f16_e32 v4, v65, v4
	v_sub_f16_e32 v60, v26, v55
	;; [unrolled: 1-line block ×7, first 2 shown]
	v_add_f16_e32 v62, v13, v24
	v_add_f16_e32 v65, v14, v9
	v_sub_f16_e32 v90, v13, v24
	v_sub_f16_e32 v91, v14, v9
	;; [unrolled: 1-line block ×4, first 2 shown]
	v_add_f16_e32 v15, v25, v15
	v_add_f16_e32 v25, v49, v51
	v_sub_f16_e32 v13, v53, v13
	v_sub_f16_e32 v14, v12, v14
	v_add_f16_e32 v49, v62, v53
	v_add_f16_e32 v12, v65, v12
	;; [unrolled: 1-line block ×3, first 2 shown]
	v_add_f16_sdwa v44, v44, v25 dst_sel:DWORD dst_unused:UNUSED_PAD src0_sel:WORD_1 src1_sel:DWORD
	v_mul_f16_e32 v53, 0x3a52, v55
	v_mul_f16_e32 v55, 0x3a52, v58
	;; [unrolled: 1-line block ×8, first 2 shown]
	v_fma_f16 v15, v15, s4, v51
	v_fma_f16 v25, v25, s4, v44
	;; [unrolled: 1-line block ×4, first 2 shown]
	v_fma_f16 v58, v60, s5, -v58
	v_fma_f16 v62, v61, s5, -v62
	;; [unrolled: 1-line block ×4, first 2 shown]
	v_fma_f16 v60, v13, s7, v65
	v_fma_f16 v61, v14, s7, v90
	v_fma_f16 v9, v9, s3, -v90
	v_fma_f16 v13, v13, s14, -v91
	;; [unrolled: 1-line block ×4, first 2 shown]
	v_add_f16_e32 v26, v26, v15
	v_add_f16_e32 v59, v59, v25
	v_add_f16_e32 v58, v58, v15
	v_add_f16_e32 v62, v62, v25
	v_add_f16_e32 v15, v53, v15
	v_add_f16_e32 v25, v55, v25
	v_fma_f16 v53, v49, s15, v60
	v_fma_f16 v55, v12, s15, v61
	;; [unrolled: 1-line block ×6, first 2 shown]
	v_add_f16_e32 v14, v55, v26
	v_sub_f16_e32 v49, v59, v53
	v_add_f16_e32 v60, v12, v15
	v_sub_f16_e32 v61, v25, v13
	v_sub_f16_e32 v12, v15, v12
	v_add_f16_e32 v13, v13, v25
	v_sub_f16_e32 v15, v26, v55
	v_add_f16_e32 v25, v53, v59
	v_add_f16_e32 v26, v48, v54
	;; [unrolled: 1-line block ×3, first 2 shown]
	v_sub_f16_e32 v48, v48, v54
	v_sub_f16_e32 v16, v16, v28
	v_add_f16_e32 v28, v50, v45
	v_add_f16_e32 v54, v10, v27
	v_sub_f16_e32 v45, v50, v45
	v_sub_f16_e32 v10, v10, v27
	v_add_f16_e32 v27, v17, v52
	v_add_f16_e32 v50, v18, v19
	;; [unrolled: 4-line block ×3, first 2 shown]
	v_sub_f16_e32 v65, v58, v9
	v_add_f16_e32 v90, v24, v62
	v_add_f16_e32 v9, v9, v58
	v_sub_f16_e32 v24, v62, v24
	v_sub_f16_e32 v55, v28, v26
	;; [unrolled: 1-line block ×7, first 2 shown]
	v_add_f16_e32 v59, v17, v45
	v_add_f16_e32 v62, v18, v10
	v_sub_f16_e32 v91, v17, v45
	v_sub_f16_e32 v92, v18, v10
	;; [unrolled: 1-line block ×3, first 2 shown]
	v_add_f16_e32 v19, v27, v19
	v_add_f16_e32 v27, v50, v52
	v_sub_f16_e32 v17, v48, v17
	v_sub_f16_e32 v18, v16, v18
	;; [unrolled: 1-line block ×3, first 2 shown]
	v_add_f16_e32 v48, v59, v48
	v_add_f16_e32 v16, v62, v16
	;; [unrolled: 1-line block ×3, first 2 shown]
	v_add_f16_sdwa v2, v2, v27 dst_sel:DWORD dst_unused:UNUSED_PAD src0_sel:WORD_1 src1_sel:DWORD
	v_mul_f16_e32 v26, 0x3a52, v26
	v_mul_f16_e32 v52, 0x3a52, v53
	;; [unrolled: 1-line block ×7, first 2 shown]
	v_fma_f16 v19, v19, s4, v50
	v_fma_f16 v27, v27, s4, v2
	;; [unrolled: 1-line block ×4, first 2 shown]
	v_fma_f16 v53, v55, s5, -v53
	v_fma_f16 v59, v58, s5, -v59
	;; [unrolled: 1-line block ×4, first 2 shown]
	v_fma_f16 v55, v17, s7, v62
	v_fma_f16 v17, v17, s14, -v92
	v_fma_f16 v58, v18, s7, v91
	v_fma_f16 v45, v45, s3, -v62
	v_add_f16_e32 v28, v28, v19
	v_add_f16_e32 v54, v54, v27
	;; [unrolled: 1-line block ×6, first 2 shown]
	v_fma_f16 v27, v48, s15, v55
	v_fma_f16 v17, v48, s15, v17
	;; [unrolled: 1-line block ×4, first 2 shown]
	v_sub_f16_e32 v48, v54, v27
	v_sub_f16_e32 v58, v26, v17
	v_add_f16_e32 v17, v17, v26
	v_add_f16_e32 v26, v27, v54
	v_pack_b32_f16 v27, v57, v43
	v_pack_b32_f16 v11, v11, v56
	;; [unrolled: 1-line block ×4, first 2 shown]
	s_waitcnt lgkmcnt(0)
	; wave barrier
	ds_write2_b32 v67, v27, v11 offset1:52
	v_pack_b32_f16 v11, v63, v64
	v_pack_b32_f16 v27, v66, v89
	ds_write2_b32 v6, v4, v3 offset0:80 offset1:132
	v_pack_b32_f16 v3, v46, v47
	v_pack_b32_f16 v4, v51, v44
	v_mul_f16_e32 v93, 0xbb00, v10
	ds_write2_b32 v67, v11, v27 offset0:104 offset1:156
	ds_write2_b32 v1, v3, v4 offset0:56 offset1:108
	v_pack_b32_f16 v3, v14, v49
	v_pack_b32_f16 v4, v60, v61
	v_fma_f16 v10, v10, s3, -v91
	v_fma_f16 v18, v18, s14, -v93
	ds_write2_b32 v1, v3, v4 offset0:160 offset1:212
	v_pack_b32_f16 v3, v65, v90
	v_pack_b32_f16 v4, v9, v24
	v_fma_f16 v10, v16, s15, v10
	v_fma_f16 v16, v16, s15, v18
	v_add_f16_e32 v18, v52, v28
	ds_write2_b32 v7, v3, v4 offset0:8 offset1:60
	v_pack_b32_f16 v3, v12, v13
	v_pack_b32_f16 v4, v15, v25
	v_add_f16_e32 v55, v16, v19
	v_sub_f16_e32 v62, v53, v10
	v_add_f16_e32 v91, v45, v59
	ds_write2_b32 v7, v3, v4 offset0:112 offset1:164
	v_pack_b32_f16 v2, v50, v2
	v_pack_b32_f16 v3, v18, v48
	v_add_u32_e32 v4, 0xa00, v112
	v_add_f16_e32 v10, v10, v53
	v_sub_f16_e32 v45, v59, v45
	v_sub_f16_e32 v16, v19, v16
	ds_write2_b32 v4, v2, v3 offset0:88 offset1:140
	v_pack_b32_f16 v2, v55, v58
	v_pack_b32_f16 v3, v62, v91
	v_add_u32_e32 v4, 0xc00, v112
	v_sub_f16_e32 v19, v28, v52
	ds_write2_b32 v4, v2, v3 offset0:64 offset1:116
	v_pack_b32_f16 v2, v10, v45
	v_pack_b32_f16 v3, v16, v17
	ds_write2_b32 v4, v2, v3 offset0:168 offset1:220
	v_pack_b32_f16 v2, v19, v26
	ds_write_b32 v112, v2 offset:4160
	s_waitcnt lgkmcnt(0)
	; wave barrier
	s_waitcnt lgkmcnt(0)
	ds_read2_b32 v[2:3], v67 offset1:52
	ds_read2_b32 v[8:9], v1 offset0:56 offset1:108
	ds_read2_b32 v[10:11], v5 offset0:88 offset1:140
	ds_read2_b32 v[12:13], v1 offset0:160 offset1:212
	ds_read2_b32 v[16:17], v0 offset0:64 offset1:116
	ds_read2_b32 v[18:19], v7 offset0:8 offset1:60
	s_waitcnt lgkmcnt(4)
	v_lshrrev_b32_e32 v43, 16, v9
	v_mul_f16_sdwa v64, v29, v43 dst_sel:DWORD dst_unused:UNUSED_PAD src0_sel:WORD_1 src1_sel:DWORD
	s_waitcnt lgkmcnt(3)
	v_lshrrev_b32_e32 v44, 16, v10
	v_fma_f16 v64, v29, v9, v64
	v_mul_f16_sdwa v9, v29, v9 dst_sel:DWORD dst_unused:UNUSED_PAD src0_sel:WORD_1 src1_sel:DWORD
	v_fma_f16 v9, v29, v43, -v9
	v_mul_f16_sdwa v29, v30, v44 dst_sel:DWORD dst_unused:UNUSED_PAD src0_sel:WORD_1 src1_sel:DWORD
	s_waitcnt lgkmcnt(2)
	v_lshrrev_b32_e32 v46, 16, v12
	v_fma_f16 v29, v30, v10, v29
	v_mul_f16_sdwa v10, v30, v10 dst_sel:DWORD dst_unused:UNUSED_PAD src0_sel:WORD_1 src1_sel:DWORD
	v_fma_f16 v10, v30, v44, -v10
	v_mul_f16_sdwa v30, v31, v46 dst_sel:DWORD dst_unused:UNUSED_PAD src0_sel:WORD_1 src1_sel:DWORD
	v_lshrrev_b32_e32 v47, 16, v11
	v_fma_f16 v30, v31, v12, v30
	v_mul_f16_sdwa v12, v31, v12 dst_sel:DWORD dst_unused:UNUSED_PAD src0_sel:WORD_1 src1_sel:DWORD
	v_fma_f16 v12, v31, v46, -v12
	v_mul_f16_sdwa v31, v32, v47 dst_sel:DWORD dst_unused:UNUSED_PAD src0_sel:WORD_1 src1_sel:DWORD
	;; [unrolled: 5-line block ×3, first 2 shown]
	s_waitcnt lgkmcnt(1)
	v_lshrrev_b32_e32 v50, 16, v16
	v_fma_f16 v32, v33, v13, v32
	v_mul_f16_sdwa v13, v33, v13 dst_sel:DWORD dst_unused:UNUSED_PAD src0_sel:WORD_1 src1_sel:DWORD
	v_fma_f16 v13, v33, v49, -v13
	v_mul_f16_sdwa v33, v34, v50 dst_sel:DWORD dst_unused:UNUSED_PAD src0_sel:WORD_1 src1_sel:DWORD
	s_waitcnt lgkmcnt(0)
	v_lshrrev_b32_e32 v52, 16, v18
	v_fma_f16 v33, v34, v16, v33
	v_mul_f16_sdwa v16, v34, v16 dst_sel:DWORD dst_unused:UNUSED_PAD src0_sel:WORD_1 src1_sel:DWORD
	ds_read2_b32 v[25:26], v0 offset0:168 offset1:220
	v_fma_f16 v16, v34, v50, -v16
	v_mul_f16_sdwa v34, v35, v52 dst_sel:DWORD dst_unused:UNUSED_PAD src0_sel:WORD_1 src1_sel:DWORD
	v_lshrrev_b32_e32 v53, 16, v17
	v_fma_f16 v34, v35, v18, v34
	v_mul_f16_sdwa v18, v35, v18 dst_sel:DWORD dst_unused:UNUSED_PAD src0_sel:WORD_1 src1_sel:DWORD
	ds_read2_b32 v[27:28], v7 offset0:112 offset1:164
	v_fma_f16 v18, v35, v52, -v18
	v_mul_f16_sdwa v35, v36, v53 dst_sel:DWORD dst_unused:UNUSED_PAD src0_sel:WORD_1 src1_sel:DWORD
	v_lshrrev_b32_e32 v55, 16, v19
	v_fma_f16 v35, v36, v17, v35
	v_mul_f16_sdwa v17, v36, v17 dst_sel:DWORD dst_unused:UNUSED_PAD src0_sel:WORD_1 src1_sel:DWORD
	v_fma_f16 v17, v36, v53, -v17
	v_mul_f16_sdwa v36, v37, v55 dst_sel:DWORD dst_unused:UNUSED_PAD src0_sel:WORD_1 src1_sel:DWORD
	s_waitcnt lgkmcnt(1)
	v_lshrrev_b32_e32 v56, 16, v25
	v_fma_f16 v36, v37, v19, v36
	v_mul_f16_sdwa v19, v37, v19 dst_sel:DWORD dst_unused:UNUSED_PAD src0_sel:WORD_1 src1_sel:DWORD
	v_fma_f16 v19, v37, v55, -v19
	v_mul_f16_sdwa v37, v38, v56 dst_sel:DWORD dst_unused:UNUSED_PAD src0_sel:WORD_1 src1_sel:DWORD
	s_waitcnt lgkmcnt(0)
	v_lshrrev_b32_e32 v59, 16, v27
	v_fma_f16 v37, v38, v25, v37
	v_mul_f16_sdwa v25, v38, v25 dst_sel:DWORD dst_unused:UNUSED_PAD src0_sel:WORD_1 src1_sel:DWORD
	ds_read_b32 v58, v67 offset:4160
	v_fma_f16 v25, v38, v56, -v25
	v_mul_f16_sdwa v38, v39, v59 dst_sel:DWORD dst_unused:UNUSED_PAD src0_sel:WORD_1 src1_sel:DWORD
	v_lshrrev_b32_e32 v60, 16, v26
	v_fma_f16 v38, v39, v27, v38
	v_mul_f16_sdwa v27, v39, v27 dst_sel:DWORD dst_unused:UNUSED_PAD src0_sel:WORD_1 src1_sel:DWORD
	v_fma_f16 v27, v39, v59, -v27
	v_mul_f16_sdwa v39, v40, v60 dst_sel:DWORD dst_unused:UNUSED_PAD src0_sel:WORD_1 src1_sel:DWORD
	v_lshrrev_b32_e32 v62, 16, v28
	v_fma_f16 v39, v40, v26, v39
	v_mul_f16_sdwa v26, v40, v26 dst_sel:DWORD dst_unused:UNUSED_PAD src0_sel:WORD_1 src1_sel:DWORD
	v_fma_f16 v26, v40, v60, -v26
	v_mul_f16_sdwa v40, v41, v62 dst_sel:DWORD dst_unused:UNUSED_PAD src0_sel:WORD_1 src1_sel:DWORD
	s_waitcnt lgkmcnt(0)
	v_lshrrev_b32_e32 v63, 16, v58
	v_fma_f16 v40, v41, v28, v40
	v_mul_f16_sdwa v28, v41, v28 dst_sel:DWORD dst_unused:UNUSED_PAD src0_sel:WORD_1 src1_sel:DWORD
	v_fma_f16 v28, v41, v62, -v28
	v_mul_f16_sdwa v41, v42, v63 dst_sel:DWORD dst_unused:UNUSED_PAD src0_sel:WORD_1 src1_sel:DWORD
	v_mul_f16_sdwa v43, v42, v58 dst_sel:DWORD dst_unused:UNUSED_PAD src0_sel:WORD_1 src1_sel:DWORD
	v_add_f16_e32 v44, v64, v29
	v_lshrrev_b32_e32 v4, 16, v2
	v_fma_f16 v41, v42, v58, v41
	v_fma_f16 v42, v42, v63, -v43
	v_add_f16_e32 v43, v2, v64
	v_fma_f16 v2, v44, -0.5, v2
	v_sub_f16_e32 v44, v9, v10
	s_mov_b32 s2, 0xbaee
	s_movk_i32 s3, 0x3aee
	v_fma_f16 v46, v44, s2, v2
	v_fma_f16 v2, v44, s3, v2
	v_add_f16_e32 v44, v4, v9
	v_add_f16_e32 v9, v9, v10
	ds_read2_b32 v[14:15], v67 offset0:104 offset1:156
	v_add_f16_e32 v43, v43, v29
	v_fma_f16 v4, v9, -0.5, v4
	v_sub_f16_e32 v9, v64, v29
	v_add_f16_e32 v29, v30, v31
	v_lshrrev_b32_e32 v45, 16, v3
	v_add_f16_e32 v44, v44, v10
	v_fma_f16 v10, v9, s3, v4
	v_fma_f16 v4, v9, s2, v4
	v_add_f16_e32 v9, v3, v30
	v_fma_f16 v3, v29, -0.5, v3
	v_sub_f16_e32 v29, v12, v11
	v_fma_f16 v47, v29, s2, v3
	v_fma_f16 v3, v29, s3, v3
	v_add_f16_e32 v29, v45, v12
	v_add_f16_e32 v29, v29, v11
	;; [unrolled: 1-line block ×4, first 2 shown]
	v_fma_f16 v11, v11, -0.5, v45
	v_sub_f16_e32 v12, v30, v31
	v_add_f16_e32 v31, v32, v33
	s_waitcnt lgkmcnt(0)
	v_lshrrev_b32_e32 v48, 16, v14
	v_fma_f16 v30, v12, s3, v11
	v_fma_f16 v11, v12, s2, v11
	v_add_f16_e32 v12, v14, v32
	v_fma_f16 v14, v31, -0.5, v14
	v_sub_f16_e32 v31, v13, v16
	v_fma_f16 v45, v31, s2, v14
	v_fma_f16 v14, v31, s3, v14
	v_add_f16_e32 v31, v48, v13
	v_add_f16_e32 v13, v13, v16
	ds_read2_b32 v[23:24], v6 offset0:80 offset1:132
	v_add_f16_e32 v12, v12, v33
	v_add_f16_e32 v31, v31, v16
	v_fma_f16 v13, v13, -0.5, v48
	v_sub_f16_e32 v16, v32, v33
	v_add_f16_e32 v33, v34, v35
	v_lshrrev_b32_e32 v51, 16, v15
	v_fma_f16 v32, v16, s3, v13
	v_fma_f16 v13, v16, s2, v13
	v_add_f16_e32 v16, v15, v34
	v_fma_f16 v15, v33, -0.5, v15
	v_sub_f16_e32 v33, v18, v17
	v_fma_f16 v48, v33, s2, v15
	v_fma_f16 v15, v33, s3, v15
	v_add_f16_e32 v33, v51, v18
	v_add_f16_e32 v33, v33, v17
	;; [unrolled: 1-line block ×4, first 2 shown]
	v_fma_f16 v17, v17, -0.5, v51
	v_sub_f16_e32 v18, v34, v35
	v_add_f16_e32 v35, v36, v37
	s_waitcnt lgkmcnt(0)
	v_lshrrev_b32_e32 v54, 16, v23
	v_fma_f16 v34, v18, s3, v17
	v_fma_f16 v17, v18, s2, v17
	v_add_f16_e32 v18, v23, v36
	v_fma_f16 v23, v35, -0.5, v23
	v_sub_f16_e32 v35, v19, v25
	v_fma_f16 v49, v35, s2, v23
	v_fma_f16 v23, v35, s3, v23
	v_add_f16_e32 v35, v54, v19
	v_add_f16_e32 v19, v19, v25
	;; [unrolled: 1-line block ×4, first 2 shown]
	v_fma_f16 v19, v19, -0.5, v54
	v_sub_f16_e32 v25, v36, v37
	v_add_f16_e32 v37, v38, v39
	v_lshrrev_b32_e32 v57, 16, v24
	v_fma_f16 v36, v25, s3, v19
	v_fma_f16 v19, v25, s2, v19
	v_add_f16_e32 v25, v24, v38
	v_fma_f16 v24, v37, -0.5, v24
	v_sub_f16_e32 v37, v27, v26
	v_fma_f16 v50, v37, s2, v24
	v_fma_f16 v24, v37, s3, v24
	v_add_f16_e32 v37, v57, v27
	v_add_f16_e32 v37, v37, v26
	;; [unrolled: 1-line block ×4, first 2 shown]
	v_fma_f16 v26, v26, -0.5, v57
	v_sub_f16_e32 v27, v38, v39
	v_add_f16_e32 v39, v40, v41
	v_lshrrev_b32_e32 v61, 16, v8
	v_fma_f16 v38, v27, s3, v26
	v_fma_f16 v26, v27, s2, v26
	v_add_f16_e32 v27, v8, v40
	v_fma_f16 v8, v39, -0.5, v8
	v_sub_f16_e32 v39, v28, v42
	v_fma_f16 v51, v39, s2, v8
	v_fma_f16 v8, v39, s3, v8
	v_add_f16_e32 v39, v61, v28
	v_add_f16_e32 v28, v28, v42
	v_fma_f16 v28, v28, -0.5, v61
	v_sub_f16_e32 v40, v40, v41
	v_pack_b32_f16 v2, v2, v4
	v_add_f16_e32 v27, v27, v41
	v_fma_f16 v41, v40, s3, v28
	v_fma_f16 v28, v40, s2, v28
	v_pack_b32_f16 v40, v43, v44
	v_pack_b32_f16 v10, v46, v10
	ds_write_b32 v67, v2 offset:2912
	v_pack_b32_f16 v2, v9, v29
	ds_write_b32 v67, v10 offset:1456
	ds_write2_b32 v67, v40, v2 offset1:52
	v_pack_b32_f16 v2, v47, v30
	v_pack_b32_f16 v9, v45, v32
	;; [unrolled: 1-line block ×3, first 2 shown]
	ds_write2_b32 v1, v2, v9 offset0:160 offset1:212
	v_pack_b32_f16 v2, v14, v13
	v_pack_b32_f16 v4, v12, v31
	ds_write2_b32 v0, v3, v2 offset0:12 offset1:64
	v_pack_b32_f16 v2, v16, v33
	ds_write2_b32 v67, v4, v2 offset0:104 offset1:156
	v_pack_b32_f16 v2, v48, v34
	v_pack_b32_f16 v3, v15, v17
	;; [unrolled: 1-line block ×3, first 2 shown]
	ds_write_b32 v67, v3 offset:3536
	v_pack_b32_f16 v3, v18, v35
	ds_write2_b32 v7, v2, v4 offset0:8 offset1:60
	v_pack_b32_f16 v4, v25, v37
	v_add_f16_e32 v39, v39, v42
	v_pack_b32_f16 v2, v23, v19
	ds_write2_b32 v6, v3, v4 offset0:80 offset1:132
	v_pack_b32_f16 v4, v24, v26
	ds_write2_b32 v0, v2, v4 offset0:168 offset1:220
	v_pack_b32_f16 v2, v27, v39
	v_pack_b32_f16 v3, v50, v38
	ds_write_b32 v67, v2 offset:1248
	v_pack_b32_f16 v2, v51, v41
	ds_write2_b32 v7, v3, v2 offset0:112 offset1:164
	v_pack_b32_f16 v2, v8, v28
	ds_write_b32 v67, v2 offset:4160
	s_waitcnt lgkmcnt(0)
	; wave barrier
	s_waitcnt lgkmcnt(0)
	ds_read2_b32 v[3:4], v67 offset1:52
	s_mov_b32 s6, 0x1e01e01e
	s_mov_b32 s7, 0x3f4e01e0
	v_mad_u64_u32 v[8:9], s[2:3], s10, v22, 0
	s_waitcnt lgkmcnt(0)
	v_lshrrev_b32_e32 v14, 16, v3
	v_mul_f16_sdwa v2, v88, v14 dst_sel:DWORD dst_unused:UNUSED_PAD src0_sel:WORD_1 src1_sel:DWORD
	v_fma_f16 v2, v88, v3, v2
	v_cvt_f32_f16_e32 v2, v2
	s_movk_i32 s17, 0x1ff
	s_movk_i32 s14, 0xffe
	;; [unrolled: 1-line block ×3, first 2 shown]
	v_cvt_f64_f32_e32 v[10:11], v2
	v_mov_b32_e32 v2, v9
	v_mad_u64_u32 v[12:13], s[2:3], s11, v22, v[2:3]
	v_mul_f64 v[10:11], v[10:11], s[6:7]
	v_mul_f16_sdwa v3, v88, v3 dst_sel:DWORD dst_unused:UNUSED_PAD src0_sel:WORD_1 src1_sel:DWORD
	v_mov_b32_e32 v9, v12
	v_fma_f16 v3, v88, v14, -v3
	v_cvt_f32_f16_e32 v3, v3
	s_mov_b32 s16, 0x8000
	v_lshlrev_b64 v[8:9], 2, v[8:9]
	s_movk_i32 s18, 0x1000
	v_and_or_b32 v2, v11, s17, v10
	v_cmp_ne_u32_e32 vcc, 0, v2
	v_cndmask_b32_e64 v2, 0, 1, vcc
	v_lshrrev_b32_e32 v10, 8, v11
	v_bfe_u32 v12, v11, 20, 11
	v_and_or_b32 v10, v10, s14, v2
	v_sub_u32_e32 v13, 0x3f1, v12
	v_or_b32_e32 v2, 0x1000, v10
	v_med3_i32 v13, v13, 0, 13
	v_lshrrev_b32_e32 v15, v13, v2
	v_lshlrev_b32_e32 v13, v13, v15
	v_cmp_ne_u32_e32 vcc, v13, v2
	v_cndmask_b32_e64 v2, 0, 1, vcc
	v_or_b32_e32 v2, v15, v2
	v_add_u32_e32 v15, 0xfffffc10, v12
	v_lshl_or_b32 v12, v15, 12, v10
	v_cmp_gt_i32_e32 vcc, 1, v15
	v_cndmask_b32_e32 v2, v12, v2, vcc
	v_and_b32_e32 v12, 7, v2
	v_cmp_lt_i32_e32 vcc, 5, v12
	v_cmp_eq_u32_e64 s[2:3], 3, v12
	v_cvt_f64_f32_e32 v[12:13], v3
	v_lshrrev_b32_e32 v2, 2, v2
	s_or_b64 vcc, s[2:3], vcc
	v_addc_co_u32_e32 v14, vcc, 0, v2, vcc
	v_mul_f64 v[12:13], v[12:13], s[6:7]
	v_mov_b32_e32 v2, 0x7c00
	v_cmp_gt_i32_e32 vcc, 31, v15
	v_cndmask_b32_e32 v3, v2, v14, vcc
	v_cmp_ne_u32_e32 vcc, 0, v10
	v_cndmask_b32_e64 v10, 0, 1, vcc
	v_lshl_or_b32 v10, v10, 9, v2
	v_cmp_eq_u32_e32 vcc, s15, v15
	v_cndmask_b32_e32 v3, v3, v10, vcc
	v_lshrrev_b32_e32 v10, 16, v11
	v_and_or_b32 v16, v10, s16, v3
	v_and_or_b32 v3, v13, s17, v12
	v_cmp_ne_u32_e32 vcc, 0, v3
	v_cndmask_b32_e64 v3, 0, 1, vcc
	v_lshrrev_b32_e32 v10, 8, v13
	v_bfe_u32 v11, v13, 20, 11
	v_and_or_b32 v3, v10, s14, v3
	v_sub_u32_e32 v12, 0x3f1, v11
	v_or_b32_e32 v10, 0x1000, v3
	v_med3_i32 v12, v12, 0, 13
	v_lshrrev_b32_e32 v14, v12, v10
	v_lshlrev_b32_e32 v12, v12, v14
	v_cmp_ne_u32_e32 vcc, v12, v10
	v_cndmask_b32_e64 v10, 0, 1, vcc
	v_add_u32_e32 v12, 0xfffffc10, v11
	v_or_b32_e32 v10, v14, v10
	v_lshl_or_b32 v11, v12, 12, v3
	v_cmp_gt_i32_e32 vcc, 1, v12
	v_cndmask_b32_e32 v10, v11, v10, vcc
	v_and_b32_e32 v11, 7, v10
	v_cmp_lt_i32_e32 vcc, 5, v11
	v_cmp_eq_u32_e64 s[2:3], 3, v11
	v_lshrrev_b32_e32 v10, 2, v10
	s_or_b64 vcc, s[2:3], vcc
	v_addc_co_u32_e32 v10, vcc, 0, v10, vcc
	v_cmp_gt_i32_e32 vcc, 31, v12
	v_cndmask_b32_e32 v14, v2, v10, vcc
	v_cmp_ne_u32_e32 vcc, 0, v3
	v_cndmask_b32_e64 v3, 0, 1, vcc
	v_lshl_or_b32 v3, v3, 9, v2
	v_cmp_eq_u32_e32 vcc, s15, v12
	v_mad_u64_u32 v[10:11], s[2:3], s8, v86, 0
	v_cndmask_b32_e32 v17, v14, v3, vcc
	ds_read2_b32 v[14:15], v7 offset0:34 offset1:86
	v_mov_b32_e32 v3, v11
	v_mad_u64_u32 v[11:12], s[2:3], s9, v86, v[3:4]
	v_lshrrev_b32_e32 v13, 16, v13
	s_waitcnt lgkmcnt(0)
	v_lshrrev_b32_e32 v3, 16, v14
	v_mul_f16_sdwa v12, v87, v3 dst_sel:DWORD dst_unused:UNUSED_PAD src0_sel:WORD_1 src1_sel:DWORD
	v_fma_f16 v12, v87, v14, v12
	v_cvt_f32_f16_e32 v12, v12
	v_and_or_b32 v17, v13, s16, v17
	v_and_b32_e32 v16, 0xffff, v16
	v_lshl_or_b32 v16, v17, 16, v16
	v_cvt_f64_f32_e32 v[12:13], v12
	v_mov_b32_e32 v17, s13
	v_add_co_u32_e32 v18, vcc, s12, v8
	v_mul_f64 v[12:13], v[12:13], s[6:7]
	v_addc_co_u32_e32 v17, vcc, v17, v9, vcc
	v_lshlrev_b64 v[8:9], 2, v[10:11]
	v_mul_f16_sdwa v14, v87, v14 dst_sel:DWORD dst_unused:UNUSED_PAD src0_sel:WORD_1 src1_sel:DWORD
	v_add_co_u32_e32 v8, vcc, v18, v8
	v_addc_co_u32_e32 v9, vcc, v17, v9, vcc
	v_and_or_b32 v10, v13, s17, v12
	v_cmp_ne_u32_e32 vcc, 0, v10
	v_cndmask_b32_e64 v10, 0, 1, vcc
	v_lshrrev_b32_e32 v11, 8, v13
	v_and_or_b32 v12, v11, s14, v10
	v_bfe_u32 v11, v13, 20, 11
	global_store_dword v[8:9], v16, off
	v_sub_u32_e32 v16, 0x3f1, v11
	v_or_b32_e32 v10, 0x1000, v12
	v_med3_i32 v16, v16, 0, 13
	v_lshrrev_b32_e32 v17, v16, v10
	v_lshlrev_b32_e32 v16, v16, v17
	v_cmp_ne_u32_e32 vcc, v16, v10
	v_fma_f16 v3, v87, v3, -v14
	v_cndmask_b32_e64 v10, 0, 1, vcc
	v_add_u32_e32 v16, 0xfffffc10, v11
	v_cvt_f32_f16_e32 v3, v3
	v_or_b32_e32 v10, v17, v10
	v_lshl_or_b32 v11, v16, 12, v12
	v_cmp_gt_i32_e32 vcc, 1, v16
	v_cndmask_b32_e32 v10, v11, v10, vcc
	v_and_b32_e32 v11, 7, v10
	v_cmp_lt_i32_e32 vcc, 5, v11
	v_cmp_eq_u32_e64 s[2:3], 3, v11
	v_lshrrev_b32_e32 v14, 2, v10
	v_cvt_f64_f32_e32 v[10:11], v3
	s_or_b64 vcc, s[2:3], vcc
	v_addc_co_u32_e32 v3, vcc, 0, v14, vcc
	v_mul_f64 v[10:11], v[10:11], s[6:7]
	v_cmp_gt_i32_e32 vcc, 31, v16
	v_cndmask_b32_e32 v3, v2, v3, vcc
	v_cmp_ne_u32_e32 vcc, 0, v12
	v_cndmask_b32_e64 v12, 0, 1, vcc
	v_lshl_or_b32 v12, v12, 9, v2
	v_cmp_eq_u32_e32 vcc, s15, v16
	v_cndmask_b32_e32 v3, v3, v12, vcc
	v_and_or_b32 v10, v11, s17, v10
	v_lshrrev_b32_e32 v12, 16, v13
	v_cmp_ne_u32_e32 vcc, 0, v10
	v_and_or_b32 v3, v12, s16, v3
	v_cndmask_b32_e64 v10, 0, 1, vcc
	v_lshrrev_b32_e32 v12, 8, v11
	v_bfe_u32 v13, v11, 20, 11
	v_and_or_b32 v10, v12, s14, v10
	v_sub_u32_e32 v14, 0x3f1, v13
	v_or_b32_e32 v12, 0x1000, v10
	v_med3_i32 v14, v14, 0, 13
	v_lshrrev_b32_e32 v16, v14, v12
	v_lshlrev_b32_e32 v14, v14, v16
	v_cmp_ne_u32_e32 vcc, v14, v12
	v_cndmask_b32_e64 v12, 0, 1, vcc
	v_add_u32_e32 v13, 0xfffffc10, v13
	v_or_b32_e32 v12, v16, v12
	v_lshl_or_b32 v14, v13, 12, v10
	v_cmp_gt_i32_e32 vcc, 1, v13
	v_cndmask_b32_e32 v12, v14, v12, vcc
	v_and_b32_e32 v14, 7, v12
	v_cmp_lt_i32_e32 vcc, 5, v14
	v_cmp_eq_u32_e64 s[2:3], 3, v14
	v_lshrrev_b32_e32 v12, 2, v12
	s_or_b64 vcc, s[2:3], vcc
	v_addc_co_u32_e32 v12, vcc, 0, v12, vcc
	v_cmp_gt_i32_e32 vcc, 31, v13
	v_cndmask_b32_e32 v12, v2, v12, vcc
	v_cmp_ne_u32_e32 vcc, 0, v10
	v_cndmask_b32_e64 v10, 0, 1, vcc
	v_lshl_or_b32 v10, v10, 9, v2
	v_cmp_eq_u32_e32 vcc, s15, v13
	v_cndmask_b32_e32 v10, v12, v10, vcc
	v_lshrrev_b32_e32 v11, 16, v11
	v_lshrrev_b32_e32 v13, 16, v4
	v_and_or_b32 v12, v11, s16, v10
	v_mul_f16_sdwa v10, v85, v13 dst_sel:DWORD dst_unused:UNUSED_PAD src0_sel:WORD_1 src1_sel:DWORD
	v_fma_f16 v10, v85, v4, v10
	v_cvt_f32_f16_e32 v10, v10
	s_mul_i32 s2, s9, 0x222
	s_mul_hi_u32 s3, s8, 0x222
	s_add_i32 s3, s3, s2
	v_cvt_f64_f32_e32 v[10:11], v10
	s_mul_i32 s2, s8, 0x222
	v_and_b32_e32 v3, 0xffff, v3
	s_lshl_b64 s[10:11], s[2:3], 2
	v_mul_f64 v[10:11], v[10:11], s[6:7]
	v_lshl_or_b32 v12, v12, 16, v3
	v_mov_b32_e32 v3, s11
	v_add_co_u32_e32 v8, vcc, s10, v8
	v_addc_co_u32_e32 v9, vcc, v9, v3, vcc
	global_store_dword v[8:9], v12, off
	v_and_or_b32 v10, v11, s17, v10
	v_cmp_ne_u32_e32 vcc, 0, v10
	v_cndmask_b32_e64 v10, 0, 1, vcc
	v_lshrrev_b32_e32 v12, 8, v11
	v_bfe_u32 v14, v11, 20, 11
	v_and_or_b32 v10, v12, s14, v10
	v_sub_u32_e32 v16, 0x3f1, v14
	v_or_b32_e32 v12, 0x1000, v10
	v_med3_i32 v16, v16, 0, 13
	v_lshrrev_b32_e32 v17, v16, v12
	v_lshlrev_b32_e32 v16, v16, v17
	v_mul_f16_sdwa v4, v85, v4 dst_sel:DWORD dst_unused:UNUSED_PAD src0_sel:WORD_1 src1_sel:DWORD
	v_cmp_ne_u32_e32 vcc, v16, v12
	v_fma_f16 v4, v85, v13, -v4
	v_cndmask_b32_e64 v12, 0, 1, vcc
	v_add_u32_e32 v14, 0xfffffc10, v14
	v_cvt_f32_f16_e32 v4, v4
	v_or_b32_e32 v12, v17, v12
	v_lshl_or_b32 v16, v14, 12, v10
	v_cmp_gt_i32_e32 vcc, 1, v14
	v_cndmask_b32_e32 v12, v16, v12, vcc
	v_and_b32_e32 v16, 7, v12
	v_cmp_lt_i32_e32 vcc, 5, v16
	v_cmp_eq_u32_e64 s[2:3], 3, v16
	v_lshrrev_b32_e32 v16, 2, v12
	v_cvt_f64_f32_e32 v[12:13], v4
	s_or_b64 vcc, s[2:3], vcc
	v_addc_co_u32_e32 v4, vcc, 0, v16, vcc
	v_mul_f64 v[12:13], v[12:13], s[6:7]
	v_cmp_gt_i32_e32 vcc, 31, v14
	v_cndmask_b32_e32 v4, v2, v4, vcc
	v_cmp_ne_u32_e32 vcc, 0, v10
	v_cndmask_b32_e64 v10, 0, 1, vcc
	v_lshl_or_b32 v10, v10, 9, v2
	v_cmp_eq_u32_e32 vcc, s15, v14
	v_cndmask_b32_e32 v4, v4, v10, vcc
	v_lshrrev_b32_e32 v10, 16, v11
	v_and_or_b32 v4, v10, s16, v4
	v_and_or_b32 v10, v13, s17, v12
	v_cmp_ne_u32_e32 vcc, 0, v10
	v_cndmask_b32_e64 v10, 0, 1, vcc
	v_lshrrev_b32_e32 v11, 8, v13
	v_bfe_u32 v12, v13, 20, 11
	v_and_or_b32 v10, v11, s14, v10
	v_sub_u32_e32 v14, 0x3f1, v12
	v_or_b32_e32 v11, 0x1000, v10
	v_med3_i32 v14, v14, 0, 13
	v_lshrrev_b32_e32 v16, v14, v11
	v_lshlrev_b32_e32 v14, v14, v16
	v_cmp_ne_u32_e32 vcc, v14, v11
	v_cndmask_b32_e64 v11, 0, 1, vcc
	v_add_u32_e32 v12, 0xfffffc10, v12
	v_or_b32_e32 v11, v16, v11
	v_lshl_or_b32 v14, v12, 12, v10
	v_cmp_gt_i32_e32 vcc, 1, v12
	v_cndmask_b32_e32 v11, v14, v11, vcc
	v_and_b32_e32 v14, 7, v11
	v_cmp_lt_i32_e32 vcc, 5, v14
	v_cmp_eq_u32_e64 s[2:3], 3, v14
	v_lshrrev_b32_e32 v11, 2, v11
	s_or_b64 vcc, s[2:3], vcc
	v_addc_co_u32_e32 v11, vcc, 0, v11, vcc
	v_cmp_gt_i32_e32 vcc, 31, v12
	v_cndmask_b32_e32 v11, v2, v11, vcc
	v_cmp_ne_u32_e32 vcc, 0, v10
	v_cndmask_b32_e64 v10, 0, 1, vcc
	v_lshl_or_b32 v10, v10, 9, v2
	v_cmp_eq_u32_e32 vcc, s15, v12
	v_cndmask_b32_e32 v10, v11, v10, vcc
	v_lshrrev_b32_e32 v11, 16, v13
	v_lshrrev_b32_e32 v13, 16, v15
	v_and_or_b32 v12, v11, s16, v10
	v_mul_f16_sdwa v10, v84, v13 dst_sel:DWORD dst_unused:UNUSED_PAD src0_sel:WORD_1 src1_sel:DWORD
	v_fma_f16 v10, v84, v15, v10
	v_cvt_f32_f16_e32 v10, v10
	s_mul_hi_u32 s3, s8, 0xfffffe12
	s_mul_i32 s2, s9, 0xfffffe12
	s_sub_i32 s3, s3, s8
	v_cvt_f64_f32_e32 v[10:11], v10
	s_add_i32 s3, s3, s2
	s_mul_i32 s2, s8, 0xfffffe12
	v_and_b32_e32 v4, 0xffff, v4
	v_mul_f64 v[10:11], v[10:11], s[6:7]
	s_lshl_b64 s[4:5], s[2:3], 2
	v_lshl_or_b32 v12, v12, 16, v4
	v_mov_b32_e32 v4, s5
	v_add_co_u32_e32 v8, vcc, s4, v8
	v_addc_co_u32_e32 v9, vcc, v9, v4, vcc
	v_and_or_b32 v10, v11, s17, v10
	v_cmp_ne_u32_e32 vcc, 0, v10
	global_store_dword v[8:9], v12, off
	v_cndmask_b32_e64 v10, 0, 1, vcc
	v_lshrrev_b32_e32 v12, 8, v11
	v_bfe_u32 v14, v11, 20, 11
	v_and_or_b32 v10, v12, s14, v10
	v_sub_u32_e32 v16, 0x3f1, v14
	v_or_b32_e32 v12, 0x1000, v10
	v_med3_i32 v16, v16, 0, 13
	v_lshrrev_b32_e32 v17, v16, v12
	v_mul_f16_sdwa v15, v84, v15 dst_sel:DWORD dst_unused:UNUSED_PAD src0_sel:WORD_1 src1_sel:DWORD
	v_lshlrev_b32_e32 v16, v16, v17
	v_fma_f16 v13, v84, v13, -v15
	v_cmp_ne_u32_e32 vcc, v16, v12
	v_cvt_f32_f16_e32 v13, v13
	v_cndmask_b32_e64 v12, 0, 1, vcc
	v_add_u32_e32 v14, 0xfffffc10, v14
	v_or_b32_e32 v12, v17, v12
	v_lshl_or_b32 v16, v14, 12, v10
	v_cmp_gt_i32_e32 vcc, 1, v14
	v_cndmask_b32_e32 v12, v16, v12, vcc
	v_and_b32_e32 v16, 7, v12
	v_lshrrev_b32_e32 v15, 2, v12
	v_cvt_f64_f32_e32 v[12:13], v13
	v_cmp_lt_i32_e32 vcc, 5, v16
	v_cmp_eq_u32_e64 s[2:3], 3, v16
	s_or_b64 vcc, s[2:3], vcc
	v_mul_f64 v[12:13], v[12:13], s[6:7]
	v_addc_co_u32_e32 v15, vcc, 0, v15, vcc
	v_cmp_gt_i32_e32 vcc, 31, v14
	v_cndmask_b32_e32 v15, v2, v15, vcc
	v_cmp_ne_u32_e32 vcc, 0, v10
	v_cndmask_b32_e64 v10, 0, 1, vcc
	v_lshl_or_b32 v10, v10, 9, v2
	v_cmp_eq_u32_e32 vcc, s15, v14
	v_cndmask_b32_e32 v10, v15, v10, vcc
	v_lshrrev_b32_e32 v11, 16, v11
	v_and_or_b32 v16, v11, s16, v10
	v_and_or_b32 v10, v13, s17, v12
	v_cmp_ne_u32_e32 vcc, 0, v10
	v_cndmask_b32_e64 v10, 0, 1, vcc
	v_lshrrev_b32_e32 v11, 8, v13
	v_and_or_b32 v12, v11, s14, v10
	v_bfe_u32 v11, v13, 20, 11
	v_sub_u32_e32 v14, 0x3f1, v11
	v_or_b32_e32 v10, 0x1000, v12
	v_med3_i32 v14, v14, 0, 13
	v_lshrrev_b32_e32 v15, v14, v10
	v_lshlrev_b32_e32 v14, v14, v15
	v_cmp_ne_u32_e32 vcc, v14, v10
	v_cndmask_b32_e64 v10, 0, 1, vcc
	v_add_u32_e32 v17, 0xfffffc10, v11
	v_or_b32_e32 v10, v15, v10
	v_lshl_or_b32 v11, v17, 12, v12
	v_cmp_gt_i32_e32 vcc, 1, v17
	v_cndmask_b32_e32 v10, v11, v10, vcc
	v_and_b32_e32 v11, 7, v10
	v_cmp_lt_i32_e32 vcc, 5, v11
	v_cmp_eq_u32_e64 s[2:3], 3, v11
	v_lshrrev_b32_e32 v14, 2, v10
	ds_read2_b32 v[10:11], v67 offset0:104 offset1:156
	s_or_b64 vcc, s[2:3], vcc
	v_addc_co_u32_e32 v14, vcc, 0, v14, vcc
	v_cmp_gt_i32_e32 vcc, 31, v17
	s_waitcnt lgkmcnt(0)
	v_lshrrev_b32_e32 v19, 16, v10
	v_cndmask_b32_e32 v18, v2, v14, vcc
	v_mul_f16_sdwa v14, v83, v19 dst_sel:DWORD dst_unused:UNUSED_PAD src0_sel:WORD_1 src1_sel:DWORD
	v_fma_f16 v14, v83, v10, v14
	v_cvt_f32_f16_e32 v14, v14
	v_cmp_ne_u32_e32 vcc, 0, v12
	v_cndmask_b32_e64 v12, 0, 1, vcc
	v_lshl_or_b32 v12, v12, 9, v2
	v_cvt_f64_f32_e32 v[14:15], v14
	v_cmp_eq_u32_e32 vcc, s15, v17
	v_cndmask_b32_e32 v12, v18, v12, vcc
	v_lshrrev_b32_e32 v13, 16, v13
	v_and_or_b32 v17, v13, s16, v12
	v_mul_f64 v[12:13], v[14:15], s[6:7]
	v_add_co_u32_e32 v8, vcc, s10, v8
	v_and_b32_e32 v14, 0xffff, v16
	v_addc_co_u32_e32 v9, vcc, v9, v3, vcc
	v_lshl_or_b32 v14, v17, 16, v14
	global_store_dword v[8:9], v14, off
	v_and_or_b32 v12, v13, s17, v12
	v_cmp_ne_u32_e32 vcc, 0, v12
	v_cndmask_b32_e64 v12, 0, 1, vcc
	v_lshrrev_b32_e32 v14, 8, v13
	v_bfe_u32 v15, v13, 20, 11
	v_and_or_b32 v12, v14, s14, v12
	v_sub_u32_e32 v16, 0x3f1, v15
	v_or_b32_e32 v14, 0x1000, v12
	v_med3_i32 v16, v16, 0, 13
	v_lshrrev_b32_e32 v17, v16, v14
	v_lshlrev_b32_e32 v16, v16, v17
	v_mul_f16_sdwa v10, v83, v10 dst_sel:DWORD dst_unused:UNUSED_PAD src0_sel:WORD_1 src1_sel:DWORD
	v_cmp_ne_u32_e32 vcc, v16, v14
	v_fma_f16 v10, v83, v19, -v10
	v_cndmask_b32_e64 v14, 0, 1, vcc
	v_add_u32_e32 v16, 0xfffffc10, v15
	v_cvt_f32_f16_e32 v10, v10
	v_or_b32_e32 v14, v17, v14
	v_lshl_or_b32 v15, v16, 12, v12
	v_cmp_gt_i32_e32 vcc, 1, v16
	v_cndmask_b32_e32 v14, v15, v14, vcc
	v_and_b32_e32 v15, 7, v14
	v_cmp_lt_i32_e32 vcc, 5, v15
	v_cmp_eq_u32_e64 s[2:3], 3, v15
	v_lshrrev_b32_e32 v17, 2, v14
	v_cvt_f64_f32_e32 v[14:15], v10
	s_or_b64 vcc, s[2:3], vcc
	v_addc_co_u32_e32 v10, vcc, 0, v17, vcc
	v_mul_f64 v[14:15], v[14:15], s[6:7]
	v_cmp_gt_i32_e32 vcc, 31, v16
	v_cndmask_b32_e32 v10, v2, v10, vcc
	v_cmp_ne_u32_e32 vcc, 0, v12
	v_cndmask_b32_e64 v12, 0, 1, vcc
	v_lshl_or_b32 v12, v12, 9, v2
	v_cmp_eq_u32_e32 vcc, s15, v16
	v_cndmask_b32_e32 v10, v10, v12, vcc
	v_lshrrev_b32_e32 v12, 16, v13
	v_and_or_b32 v10, v12, s16, v10
	v_and_or_b32 v12, v15, s17, v14
	v_cmp_ne_u32_e32 vcc, 0, v12
	v_cndmask_b32_e64 v12, 0, 1, vcc
	v_lshrrev_b32_e32 v13, 8, v15
	v_and_or_b32 v14, v13, s14, v12
	v_bfe_u32 v13, v15, 20, 11
	v_sub_u32_e32 v16, 0x3f1, v13
	v_or_b32_e32 v12, 0x1000, v14
	v_med3_i32 v16, v16, 0, 13
	v_lshrrev_b32_e32 v17, v16, v12
	v_lshlrev_b32_e32 v16, v16, v17
	v_cmp_ne_u32_e32 vcc, v16, v12
	v_cndmask_b32_e64 v12, 0, 1, vcc
	v_add_u32_e32 v18, 0xfffffc10, v13
	v_or_b32_e32 v12, v17, v12
	v_lshl_or_b32 v13, v18, 12, v14
	v_cmp_gt_i32_e32 vcc, 1, v18
	v_cndmask_b32_e32 v12, v13, v12, vcc
	v_and_b32_e32 v13, 7, v12
	v_cmp_lt_i32_e32 vcc, 5, v13
	v_cmp_eq_u32_e64 s[2:3], 3, v13
	v_lshrrev_b32_e32 v16, 2, v12
	ds_read2_b32 v[12:13], v7 offset0:138 offset1:190
	s_or_b64 vcc, s[2:3], vcc
	v_addc_co_u32_e32 v7, vcc, 0, v16, vcc
	v_cmp_gt_i32_e32 vcc, 31, v18
	s_waitcnt lgkmcnt(0)
	v_lshrrev_b32_e32 v19, 16, v12
	v_mul_f16_sdwa v16, v82, v19 dst_sel:DWORD dst_unused:UNUSED_PAD src0_sel:WORD_1 src1_sel:DWORD
	v_fma_f16 v16, v82, v12, v16
	v_cvt_f32_f16_e32 v16, v16
	v_cndmask_b32_e32 v7, v2, v7, vcc
	v_cmp_ne_u32_e32 vcc, 0, v14
	v_cndmask_b32_e64 v14, 0, 1, vcc
	v_cvt_f64_f32_e32 v[16:17], v16
	v_lshl_or_b32 v14, v14, 9, v2
	v_cmp_eq_u32_e32 vcc, s15, v18
	v_cndmask_b32_e32 v7, v7, v14, vcc
	v_lshrrev_b32_e32 v14, 16, v15
	v_and_or_b32 v7, v14, s16, v7
	v_mul_f64 v[14:15], v[16:17], s[6:7]
	v_and_b32_e32 v10, 0xffff, v10
	v_lshl_or_b32 v10, v7, 16, v10
	v_add_co_u32_e32 v7, vcc, s4, v8
	v_addc_co_u32_e32 v8, vcc, v9, v4, vcc
	global_store_dword v[7:8], v10, off
	v_and_or_b32 v9, v15, s17, v14
	v_cmp_ne_u32_e32 vcc, 0, v9
	v_cndmask_b32_e64 v9, 0, 1, vcc
	v_lshrrev_b32_e32 v10, 8, v15
	v_and_or_b32 v14, v10, s14, v9
	v_bfe_u32 v10, v15, 20, 11
	v_sub_u32_e32 v16, 0x3f1, v10
	v_or_b32_e32 v9, 0x1000, v14
	v_med3_i32 v16, v16, 0, 13
	v_lshrrev_b32_e32 v17, v16, v9
	v_lshlrev_b32_e32 v16, v16, v17
	v_mul_f16_sdwa v12, v82, v12 dst_sel:DWORD dst_unused:UNUSED_PAD src0_sel:WORD_1 src1_sel:DWORD
	v_cmp_ne_u32_e32 vcc, v16, v9
	v_fma_f16 v12, v82, v19, -v12
	v_cndmask_b32_e64 v9, 0, 1, vcc
	v_add_u32_e32 v16, 0xfffffc10, v10
	v_cvt_f32_f16_e32 v12, v12
	v_or_b32_e32 v9, v17, v9
	v_lshl_or_b32 v10, v16, 12, v14
	v_cmp_gt_i32_e32 vcc, 1, v16
	v_cndmask_b32_e32 v9, v10, v9, vcc
	v_and_b32_e32 v10, 7, v9
	v_cmp_lt_i32_e32 vcc, 5, v10
	v_cmp_eq_u32_e64 s[2:3], 3, v10
	v_lshrrev_b32_e32 v17, 2, v9
	v_cvt_f64_f32_e32 v[9:10], v12
	s_or_b64 vcc, s[2:3], vcc
	v_addc_co_u32_e32 v12, vcc, 0, v17, vcc
	v_mul_f64 v[9:10], v[9:10], s[6:7]
	v_cmp_gt_i32_e32 vcc, 31, v16
	v_cndmask_b32_e32 v12, v2, v12, vcc
	v_cmp_ne_u32_e32 vcc, 0, v14
	v_cndmask_b32_e64 v14, 0, 1, vcc
	v_lshl_or_b32 v14, v14, 9, v2
	v_cmp_eq_u32_e32 vcc, s15, v16
	v_cndmask_b32_e32 v12, v12, v14, vcc
	v_and_or_b32 v9, v10, s17, v9
	v_lshrrev_b32_e32 v14, 16, v15
	v_cmp_ne_u32_e32 vcc, 0, v9
	v_and_or_b32 v12, v14, s16, v12
	v_cndmask_b32_e64 v9, 0, 1, vcc
	v_lshrrev_b32_e32 v14, 8, v10
	v_bfe_u32 v15, v10, 20, 11
	v_and_or_b32 v9, v14, s14, v9
	v_sub_u32_e32 v16, 0x3f1, v15
	v_or_b32_e32 v14, 0x1000, v9
	v_med3_i32 v16, v16, 0, 13
	v_lshrrev_b32_e32 v17, v16, v14
	v_lshlrev_b32_e32 v16, v16, v17
	v_cmp_ne_u32_e32 vcc, v16, v14
	v_cndmask_b32_e64 v14, 0, 1, vcc
	v_add_u32_e32 v16, 0xfffffc10, v15
	v_or_b32_e32 v14, v17, v14
	v_lshl_or_b32 v15, v16, 12, v9
	v_cmp_gt_i32_e32 vcc, 1, v16
	v_cndmask_b32_e32 v14, v15, v14, vcc
	v_and_b32_e32 v15, 7, v14
	v_cmp_lt_i32_e32 vcc, 5, v15
	v_cmp_eq_u32_e64 s[2:3], 3, v15
	v_lshrrev_b32_e32 v14, 2, v14
	s_or_b64 vcc, s[2:3], vcc
	v_addc_co_u32_e32 v14, vcc, 0, v14, vcc
	v_cmp_gt_i32_e32 vcc, 31, v16
	v_lshrrev_b32_e32 v18, 16, v11
	v_cndmask_b32_e32 v17, v2, v14, vcc
	v_mul_f16_sdwa v14, v81, v18 dst_sel:DWORD dst_unused:UNUSED_PAD src0_sel:WORD_1 src1_sel:DWORD
	v_fma_f16 v14, v81, v11, v14
	v_cvt_f32_f16_e32 v14, v14
	v_cmp_ne_u32_e32 vcc, 0, v9
	v_cndmask_b32_e64 v9, 0, 1, vcc
	v_lshl_or_b32 v9, v9, 9, v2
	v_cvt_f64_f32_e32 v[14:15], v14
	v_cmp_eq_u32_e32 vcc, s15, v16
	v_cndmask_b32_e32 v9, v17, v9, vcc
	v_lshrrev_b32_e32 v10, 16, v10
	v_and_or_b32 v16, v10, s16, v9
	v_mul_f64 v[9:10], v[14:15], s[6:7]
	v_add_co_u32_e32 v7, vcc, s10, v7
	v_and_b32_e32 v12, 0xffff, v12
	v_addc_co_u32_e32 v8, vcc, v8, v3, vcc
	v_lshl_or_b32 v12, v16, 16, v12
	global_store_dword v[7:8], v12, off
	v_and_or_b32 v9, v10, s17, v9
	v_cmp_ne_u32_e32 vcc, 0, v9
	v_cndmask_b32_e64 v9, 0, 1, vcc
	v_lshrrev_b32_e32 v12, 8, v10
	v_bfe_u32 v14, v10, 20, 11
	v_and_or_b32 v9, v12, s14, v9
	v_sub_u32_e32 v15, 0x3f1, v14
	v_or_b32_e32 v12, 0x1000, v9
	v_med3_i32 v15, v15, 0, 13
	v_lshrrev_b32_e32 v16, v15, v12
	v_lshlrev_b32_e32 v15, v15, v16
	v_mul_f16_sdwa v11, v81, v11 dst_sel:DWORD dst_unused:UNUSED_PAD src0_sel:WORD_1 src1_sel:DWORD
	v_cmp_ne_u32_e32 vcc, v15, v12
	v_fma_f16 v11, v81, v18, -v11
	v_cndmask_b32_e64 v12, 0, 1, vcc
	v_add_u32_e32 v14, 0xfffffc10, v14
	v_cvt_f32_f16_e32 v11, v11
	v_or_b32_e32 v12, v16, v12
	v_lshl_or_b32 v15, v14, 12, v9
	v_cmp_gt_i32_e32 vcc, 1, v14
	v_cndmask_b32_e32 v12, v15, v12, vcc
	v_and_b32_e32 v15, 7, v12
	v_cmp_lt_i32_e32 vcc, 5, v15
	v_cmp_eq_u32_e64 s[2:3], 3, v15
	v_lshrrev_b32_e32 v15, 2, v12
	v_cvt_f64_f32_e32 v[11:12], v11
	s_or_b64 vcc, s[2:3], vcc
	v_addc_co_u32_e32 v15, vcc, 0, v15, vcc
	v_mul_f64 v[11:12], v[11:12], s[6:7]
	v_cmp_gt_i32_e32 vcc, 31, v14
	v_cndmask_b32_e32 v15, v2, v15, vcc
	v_cmp_ne_u32_e32 vcc, 0, v9
	v_cndmask_b32_e64 v9, 0, 1, vcc
	v_lshl_or_b32 v9, v9, 9, v2
	v_cmp_eq_u32_e32 vcc, s15, v14
	v_cndmask_b32_e32 v9, v15, v9, vcc
	v_lshrrev_b32_e32 v10, 16, v10
	v_and_or_b32 v14, v10, s16, v9
	v_and_or_b32 v9, v12, s17, v11
	v_cmp_ne_u32_e32 vcc, 0, v9
	v_cndmask_b32_e64 v9, 0, 1, vcc
	v_lshrrev_b32_e32 v10, 8, v12
	v_bfe_u32 v11, v12, 20, 11
	v_and_or_b32 v9, v10, s14, v9
	v_sub_u32_e32 v15, 0x3f1, v11
	v_or_b32_e32 v10, 0x1000, v9
	v_med3_i32 v15, v15, 0, 13
	v_lshrrev_b32_e32 v16, v15, v10
	v_lshlrev_b32_e32 v15, v15, v16
	v_cmp_ne_u32_e32 vcc, v15, v10
	v_cndmask_b32_e64 v10, 0, 1, vcc
	v_add_u32_e32 v11, 0xfffffc10, v11
	v_or_b32_e32 v10, v16, v10
	v_lshl_or_b32 v15, v11, 12, v9
	v_cmp_gt_i32_e32 vcc, 1, v11
	v_cndmask_b32_e32 v10, v15, v10, vcc
	v_and_b32_e32 v15, 7, v10
	v_cmp_lt_i32_e32 vcc, 5, v15
	v_cmp_eq_u32_e64 s[2:3], 3, v15
	v_lshrrev_b32_e32 v10, 2, v10
	s_or_b64 vcc, s[2:3], vcc
	v_addc_co_u32_e32 v10, vcc, 0, v10, vcc
	v_cmp_gt_i32_e32 vcc, 31, v11
	v_lshrrev_b32_e32 v16, 16, v13
	v_cndmask_b32_e32 v15, v2, v10, vcc
	v_mul_f16_sdwa v10, v80, v16 dst_sel:DWORD dst_unused:UNUSED_PAD src0_sel:WORD_1 src1_sel:DWORD
	v_fma_f16 v10, v80, v13, v10
	v_cvt_f32_f16_e32 v10, v10
	v_cmp_ne_u32_e32 vcc, 0, v9
	v_cndmask_b32_e64 v9, 0, 1, vcc
	v_lshl_or_b32 v17, v9, 9, v2
	v_cvt_f64_f32_e32 v[9:10], v10
	v_cmp_eq_u32_e32 vcc, s15, v11
	v_cndmask_b32_e32 v11, v15, v17, vcc
	v_lshrrev_b32_e32 v12, 16, v12
	v_mul_f64 v[9:10], v[9:10], s[6:7]
	v_add_co_u32_e32 v7, vcc, s4, v7
	v_and_or_b32 v11, v12, s16, v11
	v_and_b32_e32 v12, 0xffff, v14
	v_addc_co_u32_e32 v8, vcc, v8, v4, vcc
	v_lshl_or_b32 v11, v11, 16, v12
	v_and_or_b32 v9, v10, s17, v9
	v_cmp_ne_u32_e32 vcc, 0, v9
	global_store_dword v[7:8], v11, off
	v_cndmask_b32_e64 v9, 0, 1, vcc
	v_lshrrev_b32_e32 v11, 8, v10
	v_bfe_u32 v12, v10, 20, 11
	v_and_or_b32 v9, v11, s14, v9
	v_sub_u32_e32 v14, 0x3f1, v12
	v_or_b32_e32 v11, 0x1000, v9
	v_med3_i32 v14, v14, 0, 13
	v_lshrrev_b32_e32 v15, v14, v11
	v_lshlrev_b32_e32 v14, v14, v15
	v_mul_f16_sdwa v13, v80, v13 dst_sel:DWORD dst_unused:UNUSED_PAD src0_sel:WORD_1 src1_sel:DWORD
	v_cmp_ne_u32_e32 vcc, v14, v11
	v_fma_f16 v13, v80, v16, -v13
	v_cndmask_b32_e64 v11, 0, 1, vcc
	v_add_u32_e32 v14, 0xfffffc10, v12
	v_cvt_f32_f16_e32 v13, v13
	v_or_b32_e32 v11, v15, v11
	v_lshl_or_b32 v12, v14, 12, v9
	v_cmp_gt_i32_e32 vcc, 1, v14
	v_cndmask_b32_e32 v11, v12, v11, vcc
	v_and_b32_e32 v12, 7, v11
	v_cmp_lt_i32_e32 vcc, 5, v12
	v_cmp_eq_u32_e64 s[2:3], 3, v12
	v_lshrrev_b32_e32 v15, 2, v11
	v_cvt_f64_f32_e32 v[11:12], v13
	s_or_b64 vcc, s[2:3], vcc
	v_addc_co_u32_e32 v13, vcc, 0, v15, vcc
	v_mul_f64 v[11:12], v[11:12], s[6:7]
	v_cmp_gt_i32_e32 vcc, 31, v14
	v_cndmask_b32_e32 v13, v2, v13, vcc
	v_cmp_ne_u32_e32 vcc, 0, v9
	v_cndmask_b32_e64 v9, 0, 1, vcc
	v_lshl_or_b32 v9, v9, 9, v2
	v_cmp_eq_u32_e32 vcc, s15, v14
	v_cndmask_b32_e32 v9, v13, v9, vcc
	v_lshrrev_b32_e32 v10, 16, v10
	v_and_or_b32 v15, v10, s16, v9
	v_and_or_b32 v9, v12, s17, v11
	v_cmp_ne_u32_e32 vcc, 0, v9
	v_cndmask_b32_e64 v9, 0, 1, vcc
	v_lshrrev_b32_e32 v10, 8, v12
	v_and_or_b32 v11, v10, s14, v9
	v_bfe_u32 v10, v12, 20, 11
	v_sub_u32_e32 v13, 0x3f1, v10
	v_or_b32_e32 v9, 0x1000, v11
	v_med3_i32 v13, v13, 0, 13
	v_lshrrev_b32_e32 v14, v13, v9
	v_lshlrev_b32_e32 v13, v13, v14
	v_cmp_ne_u32_e32 vcc, v13, v9
	v_cndmask_b32_e64 v9, 0, 1, vcc
	v_add_u32_e32 v16, 0xfffffc10, v10
	v_or_b32_e32 v9, v14, v9
	v_lshl_or_b32 v10, v16, 12, v11
	v_cmp_gt_i32_e32 vcc, 1, v16
	v_cndmask_b32_e32 v9, v10, v9, vcc
	v_and_b32_e32 v10, 7, v9
	v_cmp_lt_i32_e32 vcc, 5, v10
	v_cmp_eq_u32_e64 s[2:3], 3, v10
	v_lshrrev_b32_e32 v13, 2, v9
	ds_read2_b32 v[9:10], v6 offset0:80 offset1:132
	s_or_b64 vcc, s[2:3], vcc
	v_addc_co_u32_e32 v6, vcc, 0, v13, vcc
	v_cmp_gt_i32_e32 vcc, 31, v16
	s_waitcnt lgkmcnt(0)
	v_lshrrev_b32_e32 v17, 16, v9
	v_mul_f16_sdwa v13, v79, v17 dst_sel:DWORD dst_unused:UNUSED_PAD src0_sel:WORD_1 src1_sel:DWORD
	v_fma_f16 v13, v79, v9, v13
	v_cvt_f32_f16_e32 v13, v13
	v_cndmask_b32_e32 v6, v2, v6, vcc
	v_cmp_ne_u32_e32 vcc, 0, v11
	v_cndmask_b32_e64 v11, 0, 1, vcc
	v_cvt_f64_f32_e32 v[13:14], v13
	v_lshl_or_b32 v11, v11, 9, v2
	v_cmp_eq_u32_e32 vcc, s15, v16
	v_cndmask_b32_e32 v6, v6, v11, vcc
	v_lshrrev_b32_e32 v11, 16, v12
	v_and_or_b32 v6, v11, s16, v6
	v_mul_f64 v[11:12], v[13:14], s[6:7]
	v_and_b32_e32 v13, 0xffff, v15
	v_lshl_or_b32 v13, v6, 16, v13
	v_add_co_u32_e32 v6, vcc, s10, v7
	v_addc_co_u32_e32 v7, vcc, v8, v3, vcc
	global_store_dword v[6:7], v13, off
	v_and_or_b32 v8, v12, s17, v11
	v_cmp_ne_u32_e32 vcc, 0, v8
	v_cndmask_b32_e64 v8, 0, 1, vcc
	v_lshrrev_b32_e32 v11, 8, v12
	v_bfe_u32 v13, v12, 20, 11
	v_and_or_b32 v11, v11, s14, v8
	v_sub_u32_e32 v14, 0x3f1, v13
	v_or_b32_e32 v8, 0x1000, v11
	v_med3_i32 v14, v14, 0, 13
	v_lshrrev_b32_e32 v15, v14, v8
	v_lshlrev_b32_e32 v14, v14, v15
	v_mul_f16_sdwa v9, v79, v9 dst_sel:DWORD dst_unused:UNUSED_PAD src0_sel:WORD_1 src1_sel:DWORD
	v_cmp_ne_u32_e32 vcc, v14, v8
	v_fma_f16 v9, v79, v17, -v9
	v_cndmask_b32_e64 v8, 0, 1, vcc
	v_add_u32_e32 v13, 0xfffffc10, v13
	v_cvt_f32_f16_e32 v9, v9
	v_or_b32_e32 v8, v15, v8
	v_lshl_or_b32 v14, v13, 12, v11
	v_cmp_gt_i32_e32 vcc, 1, v13
	v_cndmask_b32_e32 v8, v14, v8, vcc
	v_and_b32_e32 v14, 7, v8
	v_cmp_lt_i32_e32 vcc, 5, v14
	v_cmp_eq_u32_e64 s[2:3], 3, v14
	v_lshrrev_b32_e32 v14, 2, v8
	v_cvt_f64_f32_e32 v[8:9], v9
	s_or_b64 vcc, s[2:3], vcc
	v_addc_co_u32_e32 v14, vcc, 0, v14, vcc
	v_mul_f64 v[8:9], v[8:9], s[6:7]
	v_cmp_gt_i32_e32 vcc, 31, v13
	v_cndmask_b32_e32 v14, v2, v14, vcc
	v_cmp_ne_u32_e32 vcc, 0, v11
	v_cndmask_b32_e64 v11, 0, 1, vcc
	v_lshl_or_b32 v11, v11, 9, v2
	v_cmp_eq_u32_e32 vcc, s15, v13
	v_cndmask_b32_e32 v11, v14, v11, vcc
	v_and_or_b32 v8, v9, s17, v8
	v_lshrrev_b32_e32 v12, 16, v12
	v_cmp_ne_u32_e32 vcc, 0, v8
	v_and_or_b32 v15, v12, s16, v11
	v_cndmask_b32_e64 v8, 0, 1, vcc
	v_lshrrev_b32_e32 v11, 8, v9
	v_bfe_u32 v12, v9, 20, 11
	v_and_or_b32 v8, v11, s14, v8
	v_sub_u32_e32 v13, 0x3f1, v12
	v_or_b32_e32 v11, 0x1000, v8
	v_med3_i32 v13, v13, 0, 13
	v_lshrrev_b32_e32 v14, v13, v11
	v_lshlrev_b32_e32 v13, v13, v14
	v_cmp_ne_u32_e32 vcc, v13, v11
	v_cndmask_b32_e64 v11, 0, 1, vcc
	v_add_u32_e32 v16, 0xfffffc10, v12
	v_or_b32_e32 v11, v14, v11
	v_lshl_or_b32 v12, v16, 12, v8
	v_cmp_gt_i32_e32 vcc, 1, v16
	v_cndmask_b32_e32 v11, v12, v11, vcc
	v_and_b32_e32 v12, 7, v11
	v_cmp_lt_i32_e32 vcc, 5, v12
	v_cmp_eq_u32_e64 s[2:3], 3, v12
	v_lshrrev_b32_e32 v13, 2, v11
	ds_read2_b32 v[11:12], v5 offset0:114 offset1:166
	s_or_b64 vcc, s[2:3], vcc
	v_addc_co_u32_e32 v5, vcc, 0, v13, vcc
	v_cmp_gt_i32_e32 vcc, 31, v16
	s_waitcnt lgkmcnt(0)
	v_lshrrev_b32_e32 v17, 16, v11
	v_mul_f16_sdwa v13, v78, v17 dst_sel:DWORD dst_unused:UNUSED_PAD src0_sel:WORD_1 src1_sel:DWORD
	v_fma_f16 v13, v78, v11, v13
	v_cvt_f32_f16_e32 v13, v13
	v_cndmask_b32_e32 v5, v2, v5, vcc
	v_cmp_ne_u32_e32 vcc, 0, v8
	v_cndmask_b32_e64 v8, 0, 1, vcc
	v_cvt_f64_f32_e32 v[13:14], v13
	v_lshl_or_b32 v8, v8, 9, v2
	v_cmp_eq_u32_e32 vcc, s15, v16
	v_cndmask_b32_e32 v5, v5, v8, vcc
	v_lshrrev_b32_e32 v8, 16, v9
	v_and_or_b32 v5, v8, s16, v5
	v_mul_f64 v[8:9], v[13:14], s[6:7]
	v_and_b32_e32 v13, 0xffff, v15
	v_lshl_or_b32 v13, v5, 16, v13
	v_add_co_u32_e32 v5, vcc, s4, v6
	v_addc_co_u32_e32 v6, vcc, v7, v4, vcc
	global_store_dword v[5:6], v13, off
	v_and_or_b32 v7, v9, s17, v8
	v_cmp_ne_u32_e32 vcc, 0, v7
	v_cndmask_b32_e64 v7, 0, 1, vcc
	v_lshrrev_b32_e32 v8, 8, v9
	v_and_or_b32 v13, v8, s14, v7
	v_bfe_u32 v8, v9, 20, 11
	v_sub_u32_e32 v14, 0x3f1, v8
	v_or_b32_e32 v7, 0x1000, v13
	v_med3_i32 v14, v14, 0, 13
	v_lshrrev_b32_e32 v15, v14, v7
	v_lshlrev_b32_e32 v14, v14, v15
	v_mul_f16_sdwa v11, v78, v11 dst_sel:DWORD dst_unused:UNUSED_PAD src0_sel:WORD_1 src1_sel:DWORD
	v_cmp_ne_u32_e32 vcc, v14, v7
	v_fma_f16 v11, v78, v17, -v11
	v_cndmask_b32_e64 v7, 0, 1, vcc
	v_add_u32_e32 v14, 0xfffffc10, v8
	v_cvt_f32_f16_e32 v11, v11
	v_or_b32_e32 v7, v15, v7
	v_lshl_or_b32 v8, v14, 12, v13
	v_cmp_gt_i32_e32 vcc, 1, v14
	v_cndmask_b32_e32 v7, v8, v7, vcc
	v_and_b32_e32 v8, 7, v7
	v_cmp_lt_i32_e32 vcc, 5, v8
	v_cmp_eq_u32_e64 s[2:3], 3, v8
	v_lshrrev_b32_e32 v15, 2, v7
	v_cvt_f64_f32_e32 v[7:8], v11
	s_or_b64 vcc, s[2:3], vcc
	v_addc_co_u32_e32 v11, vcc, 0, v15, vcc
	v_mul_f64 v[7:8], v[7:8], s[6:7]
	v_cmp_gt_i32_e32 vcc, 31, v14
	v_cndmask_b32_e32 v11, v2, v11, vcc
	v_cmp_ne_u32_e32 vcc, 0, v13
	v_cndmask_b32_e64 v13, 0, 1, vcc
	v_lshl_or_b32 v13, v13, 9, v2
	v_cmp_eq_u32_e32 vcc, s15, v14
	v_cndmask_b32_e32 v11, v11, v13, vcc
	v_and_or_b32 v7, v8, s17, v7
	v_lshrrev_b32_e32 v9, 16, v9
	v_cmp_ne_u32_e32 vcc, 0, v7
	v_and_or_b32 v9, v9, s16, v11
	v_cndmask_b32_e64 v7, 0, 1, vcc
	v_lshrrev_b32_e32 v11, 8, v8
	v_bfe_u32 v13, v8, 20, 11
	v_and_or_b32 v7, v11, s14, v7
	v_sub_u32_e32 v14, 0x3f1, v13
	v_or_b32_e32 v11, 0x1000, v7
	v_med3_i32 v14, v14, 0, 13
	v_lshrrev_b32_e32 v15, v14, v11
	v_lshlrev_b32_e32 v14, v14, v15
	v_cmp_ne_u32_e32 vcc, v14, v11
	v_cndmask_b32_e64 v11, 0, 1, vcc
	v_or_b32_e32 v11, v15, v11
	v_add_u32_e32 v15, 0xfffffc10, v13
	v_lshl_or_b32 v13, v15, 12, v7
	v_cmp_gt_i32_e32 vcc, 1, v15
	v_cndmask_b32_e32 v11, v13, v11, vcc
	v_and_b32_e32 v13, 7, v11
	v_lshrrev_b32_e32 v16, 16, v10
	v_cmp_lt_i32_e32 vcc, 5, v13
	v_cmp_eq_u32_e64 s[2:3], 3, v13
	v_mul_f16_sdwa v13, v77, v16 dst_sel:DWORD dst_unused:UNUSED_PAD src0_sel:WORD_1 src1_sel:DWORD
	v_fma_f16 v13, v77, v10, v13
	v_cvt_f32_f16_e32 v13, v13
	v_lshrrev_b32_e32 v11, 2, v11
	s_or_b64 vcc, s[2:3], vcc
	v_addc_co_u32_e32 v11, vcc, 0, v11, vcc
	v_cmp_gt_i32_e32 vcc, 31, v15
	v_cndmask_b32_e32 v11, v2, v11, vcc
	v_cmp_ne_u32_e32 vcc, 0, v7
	v_cvt_f64_f32_e32 v[13:14], v13
	v_cndmask_b32_e64 v7, 0, 1, vcc
	v_lshl_or_b32 v7, v7, 9, v2
	v_cmp_eq_u32_e32 vcc, s15, v15
	v_cndmask_b32_e32 v7, v11, v7, vcc
	v_lshrrev_b32_e32 v8, 16, v8
	v_and_or_b32 v11, v8, s16, v7
	v_mul_f64 v[7:8], v[13:14], s[6:7]
	v_add_co_u32_e32 v5, vcc, s10, v5
	v_and_b32_e32 v9, 0xffff, v9
	v_addc_co_u32_e32 v6, vcc, v6, v3, vcc
	v_lshl_or_b32 v9, v11, 16, v9
	global_store_dword v[5:6], v9, off
	v_and_or_b32 v7, v8, s17, v7
	v_cmp_ne_u32_e32 vcc, 0, v7
	v_cndmask_b32_e64 v7, 0, 1, vcc
	v_lshrrev_b32_e32 v9, 8, v8
	v_bfe_u32 v11, v8, 20, 11
	v_and_or_b32 v7, v9, s14, v7
	v_sub_u32_e32 v13, 0x3f1, v11
	v_or_b32_e32 v9, 0x1000, v7
	v_med3_i32 v13, v13, 0, 13
	v_lshrrev_b32_e32 v14, v13, v9
	v_lshlrev_b32_e32 v13, v13, v14
	v_mul_f16_sdwa v10, v77, v10 dst_sel:DWORD dst_unused:UNUSED_PAD src0_sel:WORD_1 src1_sel:DWORD
	v_cmp_ne_u32_e32 vcc, v13, v9
	v_fma_f16 v10, v77, v16, -v10
	v_cndmask_b32_e64 v9, 0, 1, vcc
	v_add_u32_e32 v11, 0xfffffc10, v11
	v_cvt_f32_f16_e32 v10, v10
	v_or_b32_e32 v9, v14, v9
	v_lshl_or_b32 v13, v11, 12, v7
	v_cmp_gt_i32_e32 vcc, 1, v11
	v_cndmask_b32_e32 v9, v13, v9, vcc
	v_and_b32_e32 v13, 7, v9
	v_cmp_lt_i32_e32 vcc, 5, v13
	v_cmp_eq_u32_e64 s[2:3], 3, v13
	v_lshrrev_b32_e32 v13, 2, v9
	v_cvt_f64_f32_e32 v[9:10], v10
	s_or_b64 vcc, s[2:3], vcc
	v_addc_co_u32_e32 v13, vcc, 0, v13, vcc
	v_mul_f64 v[9:10], v[9:10], s[6:7]
	v_cmp_gt_i32_e32 vcc, 31, v11
	v_cndmask_b32_e32 v13, v2, v13, vcc
	v_cmp_ne_u32_e32 vcc, 0, v7
	v_cndmask_b32_e64 v7, 0, 1, vcc
	v_lshl_or_b32 v7, v7, 9, v2
	v_cmp_eq_u32_e32 vcc, s15, v11
	v_cndmask_b32_e32 v7, v13, v7, vcc
	v_lshrrev_b32_e32 v8, 16, v8
	v_and_or_b32 v11, v8, s16, v7
	v_and_or_b32 v7, v10, s17, v9
	v_cmp_ne_u32_e32 vcc, 0, v7
	v_cndmask_b32_e64 v7, 0, 1, vcc
	v_lshrrev_b32_e32 v8, 8, v10
	v_bfe_u32 v9, v10, 20, 11
	v_and_or_b32 v7, v8, s14, v7
	v_sub_u32_e32 v13, 0x3f1, v9
	v_or_b32_e32 v8, 0x1000, v7
	v_med3_i32 v13, v13, 0, 13
	v_lshrrev_b32_e32 v14, v13, v8
	v_lshlrev_b32_e32 v13, v13, v14
	v_cmp_ne_u32_e32 vcc, v13, v8
	v_cndmask_b32_e64 v8, 0, 1, vcc
	v_add_u32_e32 v9, 0xfffffc10, v9
	v_or_b32_e32 v8, v14, v8
	v_lshl_or_b32 v13, v9, 12, v7
	v_cmp_gt_i32_e32 vcc, 1, v9
	v_cndmask_b32_e32 v8, v13, v8, vcc
	v_and_b32_e32 v13, 7, v8
	v_cmp_lt_i32_e32 vcc, 5, v13
	v_cmp_eq_u32_e64 s[2:3], 3, v13
	v_lshrrev_b32_e32 v8, 2, v8
	s_or_b64 vcc, s[2:3], vcc
	v_addc_co_u32_e32 v8, vcc, 0, v8, vcc
	v_cmp_gt_i32_e32 vcc, 31, v9
	v_lshrrev_b32_e32 v14, 16, v12
	v_cndmask_b32_e32 v13, v2, v8, vcc
	v_mul_f16_sdwa v8, v76, v14 dst_sel:DWORD dst_unused:UNUSED_PAD src0_sel:WORD_1 src1_sel:DWORD
	v_fma_f16 v8, v76, v12, v8
	v_cvt_f32_f16_e32 v8, v8
	v_cmp_ne_u32_e32 vcc, 0, v7
	v_cndmask_b32_e64 v7, 0, 1, vcc
	v_lshl_or_b32 v15, v7, 9, v2
	v_cvt_f64_f32_e32 v[7:8], v8
	v_cmp_eq_u32_e32 vcc, s15, v9
	v_cndmask_b32_e32 v9, v13, v15, vcc
	v_lshrrev_b32_e32 v10, 16, v10
	v_mul_f64 v[7:8], v[7:8], s[6:7]
	v_add_co_u32_e32 v5, vcc, s4, v5
	v_and_or_b32 v9, v10, s16, v9
	v_and_b32_e32 v10, 0xffff, v11
	v_addc_co_u32_e32 v6, vcc, v6, v4, vcc
	v_lshl_or_b32 v9, v9, 16, v10
	v_and_or_b32 v7, v8, s17, v7
	v_cmp_ne_u32_e32 vcc, 0, v7
	global_store_dword v[5:6], v9, off
	v_cndmask_b32_e64 v7, 0, 1, vcc
	v_lshrrev_b32_e32 v9, 8, v8
	v_bfe_u32 v10, v8, 20, 11
	v_and_or_b32 v7, v9, s14, v7
	v_sub_u32_e32 v11, 0x3f1, v10
	v_or_b32_e32 v9, 0x1000, v7
	v_med3_i32 v11, v11, 0, 13
	v_lshrrev_b32_e32 v13, v11, v9
	v_lshlrev_b32_e32 v11, v11, v13
	v_mul_f16_sdwa v12, v76, v12 dst_sel:DWORD dst_unused:UNUSED_PAD src0_sel:WORD_1 src1_sel:DWORD
	v_cmp_ne_u32_e32 vcc, v11, v9
	v_fma_f16 v12, v76, v14, -v12
	v_cndmask_b32_e64 v9, 0, 1, vcc
	v_add_u32_e32 v11, 0xfffffc10, v10
	v_cvt_f32_f16_e32 v12, v12
	v_or_b32_e32 v9, v13, v9
	v_lshl_or_b32 v10, v11, 12, v7
	v_cmp_gt_i32_e32 vcc, 1, v11
	v_cndmask_b32_e32 v9, v10, v9, vcc
	v_and_b32_e32 v10, 7, v9
	v_cmp_lt_i32_e32 vcc, 5, v10
	v_cmp_eq_u32_e64 s[2:3], 3, v10
	v_lshrrev_b32_e32 v13, 2, v9
	v_cvt_f64_f32_e32 v[9:10], v12
	s_or_b64 vcc, s[2:3], vcc
	v_addc_co_u32_e32 v12, vcc, 0, v13, vcc
	v_mul_f64 v[9:10], v[9:10], s[6:7]
	v_cmp_gt_i32_e32 vcc, 31, v11
	v_cndmask_b32_e32 v12, v2, v12, vcc
	v_cmp_ne_u32_e32 vcc, 0, v7
	v_cndmask_b32_e64 v7, 0, 1, vcc
	v_lshl_or_b32 v7, v7, 9, v2
	v_cmp_eq_u32_e32 vcc, s15, v11
	v_cndmask_b32_e32 v7, v12, v7, vcc
	v_lshrrev_b32_e32 v8, 16, v8
	v_and_or_b32 v13, v8, s16, v7
	v_and_or_b32 v7, v10, s17, v9
	v_cmp_ne_u32_e32 vcc, 0, v7
	v_cndmask_b32_e64 v7, 0, 1, vcc
	v_lshrrev_b32_e32 v8, 8, v10
	v_and_or_b32 v9, v8, s14, v7
	v_bfe_u32 v8, v10, 20, 11
	v_sub_u32_e32 v11, 0x3f1, v8
	v_or_b32_e32 v7, 0x1000, v9
	v_med3_i32 v11, v11, 0, 13
	v_lshrrev_b32_e32 v12, v11, v7
	v_lshlrev_b32_e32 v11, v11, v12
	v_cmp_ne_u32_e32 vcc, v11, v7
	v_cndmask_b32_e64 v7, 0, 1, vcc
	v_add_u32_e32 v14, 0xfffffc10, v8
	v_or_b32_e32 v7, v12, v7
	v_lshl_or_b32 v8, v14, 12, v9
	v_cmp_gt_i32_e32 vcc, 1, v14
	v_cndmask_b32_e32 v7, v8, v7, vcc
	v_and_b32_e32 v8, 7, v7
	v_cmp_lt_i32_e32 vcc, 5, v8
	v_cmp_eq_u32_e64 s[2:3], 3, v8
	v_lshrrev_b32_e32 v11, 2, v7
	ds_read2_b32 v[7:8], v1 offset0:56 offset1:108
	s_or_b64 vcc, s[2:3], vcc
	v_addc_co_u32_e32 v11, vcc, 0, v11, vcc
	v_cmp_gt_i32_e32 vcc, 31, v14
	s_waitcnt lgkmcnt(0)
	v_lshrrev_b32_e32 v16, 16, v7
	v_cndmask_b32_e32 v15, v2, v11, vcc
	v_mul_f16_sdwa v11, v74, v16 dst_sel:DWORD dst_unused:UNUSED_PAD src0_sel:WORD_1 src1_sel:DWORD
	v_fma_f16 v11, v74, v7, v11
	v_cvt_f32_f16_e32 v11, v11
	v_cmp_ne_u32_e32 vcc, 0, v9
	v_cndmask_b32_e64 v9, 0, 1, vcc
	v_lshl_or_b32 v9, v9, 9, v2
	v_cvt_f64_f32_e32 v[11:12], v11
	v_cmp_eq_u32_e32 vcc, s15, v14
	v_cndmask_b32_e32 v9, v15, v9, vcc
	v_lshrrev_b32_e32 v10, 16, v10
	v_and_or_b32 v14, v10, s16, v9
	v_mul_f64 v[9:10], v[11:12], s[6:7]
	v_add_co_u32_e32 v5, vcc, s10, v5
	v_and_b32_e32 v11, 0xffff, v13
	v_addc_co_u32_e32 v6, vcc, v6, v3, vcc
	v_lshl_or_b32 v11, v14, 16, v11
	global_store_dword v[5:6], v11, off
	v_and_or_b32 v9, v10, s17, v9
	v_cmp_ne_u32_e32 vcc, 0, v9
	v_cndmask_b32_e64 v9, 0, 1, vcc
	v_lshrrev_b32_e32 v11, 8, v10
	v_bfe_u32 v12, v10, 20, 11
	v_and_or_b32 v9, v11, s14, v9
	v_sub_u32_e32 v13, 0x3f1, v12
	v_or_b32_e32 v11, 0x1000, v9
	v_med3_i32 v13, v13, 0, 13
	v_lshrrev_b32_e32 v14, v13, v11
	v_lshlrev_b32_e32 v13, v13, v14
	v_mul_f16_sdwa v7, v74, v7 dst_sel:DWORD dst_unused:UNUSED_PAD src0_sel:WORD_1 src1_sel:DWORD
	v_cmp_ne_u32_e32 vcc, v13, v11
	v_fma_f16 v7, v74, v16, -v7
	v_cndmask_b32_e64 v11, 0, 1, vcc
	v_add_u32_e32 v13, 0xfffffc10, v12
	v_cvt_f32_f16_e32 v7, v7
	v_or_b32_e32 v11, v14, v11
	v_lshl_or_b32 v12, v13, 12, v9
	v_cmp_gt_i32_e32 vcc, 1, v13
	v_cndmask_b32_e32 v11, v12, v11, vcc
	v_and_b32_e32 v12, 7, v11
	v_cmp_lt_i32_e32 vcc, 5, v12
	v_cmp_eq_u32_e64 s[2:3], 3, v12
	v_lshrrev_b32_e32 v14, 2, v11
	v_cvt_f64_f32_e32 v[11:12], v7
	s_or_b64 vcc, s[2:3], vcc
	v_addc_co_u32_e32 v7, vcc, 0, v14, vcc
	v_mul_f64 v[11:12], v[11:12], s[6:7]
	v_cmp_gt_i32_e32 vcc, 31, v13
	v_cndmask_b32_e32 v7, v2, v7, vcc
	v_cmp_ne_u32_e32 vcc, 0, v9
	v_cndmask_b32_e64 v9, 0, 1, vcc
	v_lshl_or_b32 v9, v9, 9, v2
	v_cmp_eq_u32_e32 vcc, s15, v13
	v_cndmask_b32_e32 v7, v7, v9, vcc
	v_lshrrev_b32_e32 v9, 16, v10
	v_and_or_b32 v7, v9, s16, v7
	v_and_or_b32 v9, v12, s17, v11
	v_cmp_ne_u32_e32 vcc, 0, v9
	v_cndmask_b32_e64 v9, 0, 1, vcc
	v_lshrrev_b32_e32 v10, 8, v12
	v_and_or_b32 v11, v10, s14, v9
	v_bfe_u32 v10, v12, 20, 11
	v_sub_u32_e32 v13, 0x3f1, v10
	v_or_b32_e32 v9, 0x1000, v11
	v_med3_i32 v13, v13, 0, 13
	v_lshrrev_b32_e32 v14, v13, v9
	v_lshlrev_b32_e32 v13, v13, v14
	v_cmp_ne_u32_e32 vcc, v13, v9
	v_cndmask_b32_e64 v9, 0, 1, vcc
	v_add_u32_e32 v15, 0xfffffc10, v10
	v_or_b32_e32 v9, v14, v9
	v_lshl_or_b32 v10, v15, 12, v11
	v_cmp_gt_i32_e32 vcc, 1, v15
	v_cndmask_b32_e32 v9, v10, v9, vcc
	v_and_b32_e32 v10, 7, v9
	v_cmp_lt_i32_e32 vcc, 5, v10
	v_cmp_eq_u32_e64 s[2:3], 3, v10
	v_lshrrev_b32_e32 v13, 2, v9
	ds_read2_b32 v[9:10], v0 offset0:90 offset1:142
	s_or_b64 vcc, s[2:3], vcc
	v_addc_co_u32_e32 v13, vcc, 0, v13, vcc
	v_cmp_gt_i32_e32 vcc, 31, v15
	s_waitcnt lgkmcnt(0)
	v_lshrrev_b32_e32 v17, 16, v9
	v_cndmask_b32_e32 v16, v2, v13, vcc
	v_mul_f16_sdwa v13, v75, v17 dst_sel:DWORD dst_unused:UNUSED_PAD src0_sel:WORD_1 src1_sel:DWORD
	v_fma_f16 v13, v75, v9, v13
	v_cvt_f32_f16_e32 v13, v13
	v_cmp_ne_u32_e32 vcc, 0, v11
	v_cndmask_b32_e64 v11, 0, 1, vcc
	v_lshl_or_b32 v11, v11, 9, v2
	v_cvt_f64_f32_e32 v[13:14], v13
	v_cmp_eq_u32_e32 vcc, s15, v15
	v_cndmask_b32_e32 v11, v16, v11, vcc
	v_lshrrev_b32_e32 v12, 16, v12
	v_and_or_b32 v15, v12, s16, v11
	v_mul_f64 v[11:12], v[13:14], s[6:7]
	v_and_b32_e32 v7, 0xffff, v7
	v_add_co_u32_e32 v5, vcc, s4, v5
	v_lshl_or_b32 v7, v15, 16, v7
	v_addc_co_u32_e32 v6, vcc, v6, v4, vcc
	global_store_dword v[5:6], v7, off
	v_and_or_b32 v7, v12, s17, v11
	v_cmp_ne_u32_e32 vcc, 0, v7
	v_cndmask_b32_e64 v7, 0, 1, vcc
	v_lshrrev_b32_e32 v11, 8, v12
	v_bfe_u32 v13, v12, 20, 11
	v_and_or_b32 v7, v11, s14, v7
	v_sub_u32_e32 v14, 0x3f1, v13
	v_or_b32_e32 v11, 0x1000, v7
	v_med3_i32 v14, v14, 0, 13
	v_lshrrev_b32_e32 v15, v14, v11
	v_lshlrev_b32_e32 v14, v14, v15
	v_cmp_ne_u32_e32 vcc, v14, v11
	v_mul_f16_sdwa v9, v75, v9 dst_sel:DWORD dst_unused:UNUSED_PAD src0_sel:WORD_1 src1_sel:DWORD
	v_cndmask_b32_e64 v11, 0, 1, vcc
	v_fma_f16 v9, v75, v17, -v9
	v_or_b32_e32 v11, v15, v11
	v_add_u32_e32 v15, 0xfffffc10, v13
	v_cvt_f32_f16_e32 v9, v9
	v_lshl_or_b32 v13, v15, 12, v7
	v_cmp_gt_i32_e32 vcc, 1, v15
	v_cndmask_b32_e32 v11, v13, v11, vcc
	v_and_b32_e32 v13, 7, v11
	v_cmp_lt_i32_e32 vcc, 5, v13
	v_cmp_eq_u32_e64 s[2:3], 3, v13
	v_cvt_f64_f32_e32 v[13:14], v9
	v_lshrrev_b32_e32 v11, 2, v11
	s_or_b64 vcc, s[2:3], vcc
	v_addc_co_u32_e32 v9, vcc, 0, v11, vcc
	v_mul_f64 v[13:14], v[13:14], s[6:7]
	v_cmp_gt_i32_e32 vcc, 31, v15
	v_cndmask_b32_e32 v9, v2, v9, vcc
	v_cmp_ne_u32_e32 vcc, 0, v7
	v_cndmask_b32_e64 v7, 0, 1, vcc
	v_lshl_or_b32 v7, v7, 9, v2
	v_cmp_eq_u32_e32 vcc, s15, v15
	v_cndmask_b32_e32 v7, v9, v7, vcc
	v_lshrrev_b32_e32 v9, 16, v12
	v_and_or_b32 v7, v9, s16, v7
	v_and_or_b32 v9, v14, s17, v13
	v_cmp_ne_u32_e32 vcc, 0, v9
	v_cndmask_b32_e64 v9, 0, 1, vcc
	v_lshrrev_b32_e32 v11, 8, v14
	v_bfe_u32 v12, v14, 20, 11
	v_and_or_b32 v9, v11, s14, v9
	v_sub_u32_e32 v13, 0x3f1, v12
	v_or_b32_e32 v11, 0x1000, v9
	v_med3_i32 v13, v13, 0, 13
	v_lshrrev_b32_e32 v15, v13, v11
	v_lshlrev_b32_e32 v13, v13, v15
	v_cmp_ne_u32_e32 vcc, v13, v11
	v_cndmask_b32_e64 v11, 0, 1, vcc
	v_add_u32_e32 v13, 0xfffffc10, v12
	v_or_b32_e32 v11, v15, v11
	v_lshl_or_b32 v12, v13, 12, v9
	v_cmp_gt_i32_e32 vcc, 1, v13
	v_cndmask_b32_e32 v11, v12, v11, vcc
	v_and_b32_e32 v12, 7, v11
	v_cmp_lt_i32_e32 vcc, 5, v12
	v_cmp_eq_u32_e64 s[2:3], 3, v12
	v_lshrrev_b32_e32 v11, 2, v11
	s_or_b64 vcc, s[2:3], vcc
	v_addc_co_u32_e32 v11, vcc, 0, v11, vcc
	v_cmp_gt_i32_e32 vcc, 31, v13
	v_lshrrev_b32_e32 v16, 16, v8
	v_cndmask_b32_e32 v15, v2, v11, vcc
	v_mul_f16_sdwa v11, v72, v16 dst_sel:DWORD dst_unused:UNUSED_PAD src0_sel:WORD_1 src1_sel:DWORD
	v_fma_f16 v11, v72, v8, v11
	v_cvt_f32_f16_e32 v11, v11
	v_cmp_ne_u32_e32 vcc, 0, v9
	v_cndmask_b32_e64 v9, 0, 1, vcc
	v_lshl_or_b32 v9, v9, 9, v2
	v_cvt_f64_f32_e32 v[11:12], v11
	v_cmp_eq_u32_e32 vcc, s15, v13
	v_cndmask_b32_e32 v9, v15, v9, vcc
	v_lshrrev_b32_e32 v13, 16, v14
	v_mul_f64 v[11:12], v[11:12], s[6:7]
	v_and_or_b32 v9, v13, s16, v9
	v_and_b32_e32 v7, 0xffff, v7
	v_add_co_u32_e32 v5, vcc, s10, v5
	v_lshl_or_b32 v7, v9, 16, v7
	v_addc_co_u32_e32 v6, vcc, v6, v3, vcc
	global_store_dword v[5:6], v7, off
	v_and_or_b32 v7, v12, s17, v11
	v_cmp_ne_u32_e32 vcc, 0, v7
	v_cndmask_b32_e64 v7, 0, 1, vcc
	v_lshrrev_b32_e32 v9, 8, v12
	v_bfe_u32 v11, v12, 20, 11
	v_and_or_b32 v9, v9, s14, v7
	v_sub_u32_e32 v13, 0x3f1, v11
	v_or_b32_e32 v7, 0x1000, v9
	v_med3_i32 v13, v13, 0, 13
	v_lshrrev_b32_e32 v14, v13, v7
	v_lshlrev_b32_e32 v13, v13, v14
	v_mul_f16_sdwa v8, v72, v8 dst_sel:DWORD dst_unused:UNUSED_PAD src0_sel:WORD_1 src1_sel:DWORD
	v_cmp_ne_u32_e32 vcc, v13, v7
	v_fma_f16 v8, v72, v16, -v8
	v_cndmask_b32_e64 v7, 0, 1, vcc
	v_add_u32_e32 v11, 0xfffffc10, v11
	v_cvt_f32_f16_e32 v8, v8
	v_or_b32_e32 v7, v14, v7
	v_lshl_or_b32 v13, v11, 12, v9
	v_cmp_gt_i32_e32 vcc, 1, v11
	v_cndmask_b32_e32 v7, v13, v7, vcc
	v_and_b32_e32 v13, 7, v7
	v_cmp_lt_i32_e32 vcc, 5, v13
	v_cmp_eq_u32_e64 s[2:3], 3, v13
	v_lshrrev_b32_e32 v13, 2, v7
	v_cvt_f64_f32_e32 v[7:8], v8
	s_or_b64 vcc, s[2:3], vcc
	v_addc_co_u32_e32 v13, vcc, 0, v13, vcc
	v_mul_f64 v[7:8], v[7:8], s[6:7]
	v_cmp_gt_i32_e32 vcc, 31, v11
	v_cndmask_b32_e32 v13, v2, v13, vcc
	v_cmp_ne_u32_e32 vcc, 0, v9
	v_cndmask_b32_e64 v9, 0, 1, vcc
	v_lshl_or_b32 v9, v9, 9, v2
	v_cmp_eq_u32_e32 vcc, s15, v11
	v_cndmask_b32_e32 v9, v13, v9, vcc
	v_and_or_b32 v7, v8, s17, v7
	v_lshrrev_b32_e32 v11, 16, v12
	v_cmp_ne_u32_e32 vcc, 0, v7
	v_and_or_b32 v9, v11, s16, v9
	v_cndmask_b32_e64 v7, 0, 1, vcc
	v_lshrrev_b32_e32 v11, 8, v8
	v_bfe_u32 v12, v8, 20, 11
	v_and_or_b32 v7, v11, s14, v7
	v_sub_u32_e32 v13, 0x3f1, v12
	v_or_b32_e32 v11, 0x1000, v7
	v_med3_i32 v13, v13, 0, 13
	v_lshrrev_b32_e32 v14, v13, v11
	v_lshlrev_b32_e32 v13, v13, v14
	v_cmp_ne_u32_e32 vcc, v13, v11
	v_cndmask_b32_e64 v11, 0, 1, vcc
	v_add_u32_e32 v13, 0xfffffc10, v12
	v_or_b32_e32 v11, v14, v11
	v_lshl_or_b32 v12, v13, 12, v7
	v_cmp_gt_i32_e32 vcc, 1, v13
	v_cndmask_b32_e32 v11, v12, v11, vcc
	v_and_b32_e32 v12, 7, v11
	v_cmp_lt_i32_e32 vcc, 5, v12
	v_cmp_eq_u32_e64 s[2:3], 3, v12
	v_lshrrev_b32_e32 v11, 2, v11
	s_or_b64 vcc, s[2:3], vcc
	v_addc_co_u32_e32 v11, vcc, 0, v11, vcc
	v_cmp_gt_i32_e32 vcc, 31, v13
	v_lshrrev_b32_e32 v15, 16, v10
	v_cndmask_b32_e32 v14, v2, v11, vcc
	v_mul_f16_sdwa v11, v73, v15 dst_sel:DWORD dst_unused:UNUSED_PAD src0_sel:WORD_1 src1_sel:DWORD
	v_fma_f16 v11, v73, v10, v11
	v_cvt_f32_f16_e32 v11, v11
	v_cmp_ne_u32_e32 vcc, 0, v7
	v_cndmask_b32_e64 v7, 0, 1, vcc
	v_lshl_or_b32 v7, v7, 9, v2
	v_cvt_f64_f32_e32 v[11:12], v11
	v_cmp_eq_u32_e32 vcc, s15, v13
	v_cndmask_b32_e32 v7, v14, v7, vcc
	v_lshrrev_b32_e32 v8, 16, v8
	v_and_or_b32 v13, v8, s16, v7
	v_mul_f64 v[7:8], v[11:12], s[6:7]
	v_add_co_u32_e32 v5, vcc, s4, v5
	v_and_b32_e32 v9, 0xffff, v9
	v_addc_co_u32_e32 v6, vcc, v6, v4, vcc
	v_lshl_or_b32 v9, v13, 16, v9
	global_store_dword v[5:6], v9, off
	v_and_or_b32 v7, v8, s17, v7
	v_cmp_ne_u32_e32 vcc, 0, v7
	v_cndmask_b32_e64 v7, 0, 1, vcc
	v_lshrrev_b32_e32 v9, 8, v8
	v_bfe_u32 v11, v8, 20, 11
	v_and_or_b32 v7, v9, s14, v7
	v_sub_u32_e32 v12, 0x3f1, v11
	v_or_b32_e32 v9, 0x1000, v7
	v_med3_i32 v12, v12, 0, 13
	v_lshrrev_b32_e32 v13, v12, v9
	v_lshlrev_b32_e32 v12, v12, v13
	v_mul_f16_sdwa v10, v73, v10 dst_sel:DWORD dst_unused:UNUSED_PAD src0_sel:WORD_1 src1_sel:DWORD
	v_cmp_ne_u32_e32 vcc, v12, v9
	v_fma_f16 v10, v73, v15, -v10
	v_cndmask_b32_e64 v9, 0, 1, vcc
	v_add_u32_e32 v11, 0xfffffc10, v11
	v_cvt_f32_f16_e32 v10, v10
	v_or_b32_e32 v9, v13, v9
	v_lshl_or_b32 v12, v11, 12, v7
	v_cmp_gt_i32_e32 vcc, 1, v11
	v_cndmask_b32_e32 v9, v12, v9, vcc
	v_and_b32_e32 v12, 7, v9
	v_cmp_lt_i32_e32 vcc, 5, v12
	v_cmp_eq_u32_e64 s[2:3], 3, v12
	v_lshrrev_b32_e32 v12, 2, v9
	v_cvt_f64_f32_e32 v[9:10], v10
	s_or_b64 vcc, s[2:3], vcc
	v_addc_co_u32_e32 v12, vcc, 0, v12, vcc
	v_mul_f64 v[9:10], v[9:10], s[6:7]
	v_cmp_gt_i32_e32 vcc, 31, v11
	v_cndmask_b32_e32 v12, v2, v12, vcc
	v_cmp_ne_u32_e32 vcc, 0, v7
	v_cndmask_b32_e64 v7, 0, 1, vcc
	v_lshl_or_b32 v7, v7, 9, v2
	v_cmp_eq_u32_e32 vcc, s15, v11
	v_cndmask_b32_e32 v7, v12, v7, vcc
	v_lshrrev_b32_e32 v8, 16, v8
	v_and_or_b32 v13, v8, s16, v7
	v_and_or_b32 v7, v10, s17, v9
	v_cmp_ne_u32_e32 vcc, 0, v7
	v_cndmask_b32_e64 v7, 0, 1, vcc
	v_lshrrev_b32_e32 v8, 8, v10
	v_and_or_b32 v9, v8, s14, v7
	v_bfe_u32 v8, v10, 20, 11
	v_sub_u32_e32 v11, 0x3f1, v8
	v_or_b32_e32 v7, 0x1000, v9
	v_med3_i32 v11, v11, 0, 13
	v_lshrrev_b32_e32 v12, v11, v7
	v_lshlrev_b32_e32 v11, v11, v12
	v_cmp_ne_u32_e32 vcc, v11, v7
	v_cndmask_b32_e64 v7, 0, 1, vcc
	v_add_u32_e32 v14, 0xfffffc10, v8
	v_or_b32_e32 v7, v12, v7
	v_lshl_or_b32 v8, v14, 12, v9
	v_cmp_gt_i32_e32 vcc, 1, v14
	v_cndmask_b32_e32 v7, v8, v7, vcc
	v_and_b32_e32 v8, 7, v7
	v_cmp_lt_i32_e32 vcc, 5, v8
	v_cmp_eq_u32_e64 s[2:3], 3, v8
	v_lshrrev_b32_e32 v11, 2, v7
	ds_read2_b32 v[7:8], v1 offset0:160 offset1:212
	s_or_b64 vcc, s[2:3], vcc
	v_addc_co_u32_e32 v1, vcc, 0, v11, vcc
	v_cmp_gt_i32_e32 vcc, 31, v14
	s_waitcnt lgkmcnt(0)
	v_lshrrev_b32_e32 v15, 16, v7
	v_mul_f16_sdwa v11, v71, v15 dst_sel:DWORD dst_unused:UNUSED_PAD src0_sel:WORD_1 src1_sel:DWORD
	v_fma_f16 v11, v71, v7, v11
	v_cvt_f32_f16_e32 v11, v11
	v_cndmask_b32_e32 v1, v2, v1, vcc
	v_cmp_ne_u32_e32 vcc, 0, v9
	v_cndmask_b32_e64 v9, 0, 1, vcc
	v_cvt_f64_f32_e32 v[11:12], v11
	v_lshl_or_b32 v9, v9, 9, v2
	v_cmp_eq_u32_e32 vcc, s15, v14
	v_cndmask_b32_e32 v1, v1, v9, vcc
	v_lshrrev_b32_e32 v9, 16, v10
	v_and_or_b32 v1, v9, s16, v1
	v_mul_f64 v[9:10], v[11:12], s[6:7]
	v_and_b32_e32 v11, 0xffff, v13
	v_add_co_u32_e32 v5, vcc, s10, v5
	v_lshl_or_b32 v1, v1, 16, v11
	v_addc_co_u32_e32 v6, vcc, v6, v3, vcc
	global_store_dword v[5:6], v1, off
	v_and_or_b32 v1, v10, s17, v9
	v_cmp_ne_u32_e32 vcc, 0, v1
	v_cndmask_b32_e64 v1, 0, 1, vcc
	v_lshrrev_b32_e32 v9, 8, v10
	v_bfe_u32 v11, v10, 20, 11
	v_and_or_b32 v1, v9, s14, v1
	v_sub_u32_e32 v12, 0x3f1, v11
	v_or_b32_e32 v9, 0x1000, v1
	v_med3_i32 v12, v12, 0, 13
	v_lshrrev_b32_e32 v13, v12, v9
	v_lshlrev_b32_e32 v12, v12, v13
	v_cmp_ne_u32_e32 vcc, v12, v9
	v_mul_f16_sdwa v7, v71, v7 dst_sel:DWORD dst_unused:UNUSED_PAD src0_sel:WORD_1 src1_sel:DWORD
	v_cndmask_b32_e64 v9, 0, 1, vcc
	v_fma_f16 v7, v71, v15, -v7
	v_or_b32_e32 v9, v13, v9
	v_add_u32_e32 v13, 0xfffffc10, v11
	v_cvt_f32_f16_e32 v7, v7
	v_lshl_or_b32 v11, v13, 12, v1
	v_cmp_gt_i32_e32 vcc, 1, v13
	v_cndmask_b32_e32 v9, v11, v9, vcc
	v_and_b32_e32 v11, 7, v9
	v_cmp_lt_i32_e32 vcc, 5, v11
	v_cmp_eq_u32_e64 s[2:3], 3, v11
	v_cvt_f64_f32_e32 v[11:12], v7
	v_lshrrev_b32_e32 v9, 2, v9
	s_or_b64 vcc, s[2:3], vcc
	v_addc_co_u32_e32 v7, vcc, 0, v9, vcc
	v_mul_f64 v[11:12], v[11:12], s[6:7]
	v_cmp_gt_i32_e32 vcc, 31, v13
	v_cndmask_b32_e32 v7, v2, v7, vcc
	v_cmp_ne_u32_e32 vcc, 0, v1
	v_cndmask_b32_e64 v1, 0, 1, vcc
	v_lshl_or_b32 v1, v1, 9, v2
	v_cmp_eq_u32_e32 vcc, s15, v13
	v_cndmask_b32_e32 v1, v7, v1, vcc
	v_lshrrev_b32_e32 v7, 16, v10
	v_and_or_b32 v7, v7, s16, v1
	v_and_or_b32 v1, v12, s17, v11
	v_cmp_ne_u32_e32 vcc, 0, v1
	v_cndmask_b32_e64 v1, 0, 1, vcc
	v_lshrrev_b32_e32 v9, 8, v12
	v_bfe_u32 v10, v12, 20, 11
	v_and_or_b32 v9, v9, s14, v1
	v_sub_u32_e32 v11, 0x3f1, v10
	v_or_b32_e32 v1, 0x1000, v9
	v_med3_i32 v11, v11, 0, 13
	v_lshrrev_b32_e32 v13, v11, v1
	v_lshlrev_b32_e32 v11, v11, v13
	v_cmp_ne_u32_e32 vcc, v11, v1
	v_cndmask_b32_e64 v1, 0, 1, vcc
	v_add_u32_e32 v11, 0xfffffc10, v10
	v_or_b32_e32 v1, v13, v1
	v_lshl_or_b32 v10, v11, 12, v9
	v_cmp_gt_i32_e32 vcc, 1, v11
	v_cndmask_b32_e32 v1, v10, v1, vcc
	v_and_b32_e32 v10, 7, v1
	v_cmp_lt_i32_e32 vcc, 5, v10
	v_cmp_eq_u32_e64 s[2:3], 3, v10
	v_lshrrev_b32_e32 v10, 2, v1
	ds_read2_b32 v[0:1], v0 offset0:194 offset1:246
	s_or_b64 vcc, s[2:3], vcc
	v_addc_co_u32_e32 v10, vcc, 0, v10, vcc
	v_cmp_gt_i32_e32 vcc, 31, v11
	s_waitcnt lgkmcnt(0)
	v_lshrrev_b32_e32 v14, 16, v0
	v_cndmask_b32_e32 v13, v2, v10, vcc
	v_mul_f16_sdwa v10, v70, v14 dst_sel:DWORD dst_unused:UNUSED_PAD src0_sel:WORD_1 src1_sel:DWORD
	v_fma_f16 v10, v70, v0, v10
	v_cvt_f32_f16_e32 v10, v10
	v_cmp_ne_u32_e32 vcc, 0, v9
	v_cndmask_b32_e64 v9, 0, 1, vcc
	v_lshl_or_b32 v15, v9, 9, v2
	v_cvt_f64_f32_e32 v[9:10], v10
	v_cmp_eq_u32_e32 vcc, s15, v11
	v_cndmask_b32_e32 v11, v13, v15, vcc
	v_lshrrev_b32_e32 v12, 16, v12
	v_mul_f64 v[9:10], v[9:10], s[6:7]
	v_and_or_b32 v11, v12, s16, v11
	v_and_b32_e32 v7, 0xffff, v7
	v_add_co_u32_e32 v5, vcc, s4, v5
	v_lshl_or_b32 v7, v11, 16, v7
	v_addc_co_u32_e32 v6, vcc, v6, v4, vcc
	global_store_dword v[5:6], v7, off
	v_and_or_b32 v7, v10, s17, v9
	v_cmp_ne_u32_e32 vcc, 0, v7
	v_cndmask_b32_e64 v7, 0, 1, vcc
	v_lshrrev_b32_e32 v9, 8, v10
	v_bfe_u32 v11, v10, 20, 11
	v_and_or_b32 v7, v9, s14, v7
	v_sub_u32_e32 v12, 0x3f1, v11
	v_or_b32_e32 v9, 0x1000, v7
	v_med3_i32 v12, v12, 0, 13
	v_lshrrev_b32_e32 v13, v12, v9
	v_lshlrev_b32_e32 v12, v12, v13
	v_cmp_ne_u32_e32 vcc, v12, v9
	v_mul_f16_sdwa v0, v70, v0 dst_sel:DWORD dst_unused:UNUSED_PAD src0_sel:WORD_1 src1_sel:DWORD
	v_cndmask_b32_e64 v9, 0, 1, vcc
	v_fma_f16 v0, v70, v14, -v0
	v_or_b32_e32 v9, v13, v9
	v_add_u32_e32 v13, 0xfffffc10, v11
	v_cvt_f32_f16_e32 v0, v0
	v_lshl_or_b32 v11, v13, 12, v7
	v_cmp_gt_i32_e32 vcc, 1, v13
	v_cndmask_b32_e32 v9, v11, v9, vcc
	v_and_b32_e32 v11, 7, v9
	v_cmp_lt_i32_e32 vcc, 5, v11
	v_cmp_eq_u32_e64 s[2:3], 3, v11
	v_cvt_f64_f32_e32 v[11:12], v0
	v_lshrrev_b32_e32 v9, 2, v9
	s_or_b64 vcc, s[2:3], vcc
	v_addc_co_u32_e32 v0, vcc, 0, v9, vcc
	v_mul_f64 v[11:12], v[11:12], s[6:7]
	v_cmp_gt_i32_e32 vcc, 31, v13
	v_cndmask_b32_e32 v0, v2, v0, vcc
	v_cmp_ne_u32_e32 vcc, 0, v7
	v_cndmask_b32_e64 v7, 0, 1, vcc
	v_lshl_or_b32 v7, v7, 9, v2
	v_cmp_eq_u32_e32 vcc, s15, v13
	v_cndmask_b32_e32 v0, v0, v7, vcc
	v_lshrrev_b32_e32 v7, 16, v10
	v_and_or_b32 v0, v7, s16, v0
	v_and_or_b32 v7, v12, s17, v11
	v_cmp_ne_u32_e32 vcc, 0, v7
	v_cndmask_b32_e64 v7, 0, 1, vcc
	v_lshrrev_b32_e32 v9, 8, v12
	v_bfe_u32 v10, v12, 20, 11
	v_and_or_b32 v7, v9, s14, v7
	v_sub_u32_e32 v11, 0x3f1, v10
	v_or_b32_e32 v9, 0x1000, v7
	v_med3_i32 v11, v11, 0, 13
	v_lshrrev_b32_e32 v13, v11, v9
	v_lshlrev_b32_e32 v11, v11, v13
	v_cmp_ne_u32_e32 vcc, v11, v9
	v_cndmask_b32_e64 v9, 0, 1, vcc
	v_add_u32_e32 v11, 0xfffffc10, v10
	v_or_b32_e32 v9, v13, v9
	v_lshl_or_b32 v10, v11, 12, v7
	v_cmp_gt_i32_e32 vcc, 1, v11
	v_cndmask_b32_e32 v9, v10, v9, vcc
	v_and_b32_e32 v10, 7, v9
	v_cmp_lt_i32_e32 vcc, 5, v10
	v_cmp_eq_u32_e64 s[2:3], 3, v10
	v_lshrrev_b32_e32 v9, 2, v9
	s_or_b64 vcc, s[2:3], vcc
	v_addc_co_u32_e32 v9, vcc, 0, v9, vcc
	v_cmp_gt_i32_e32 vcc, 31, v11
	v_lshrrev_b32_e32 v14, 16, v8
	v_cndmask_b32_e32 v13, v2, v9, vcc
	v_mul_f16_sdwa v9, v69, v14 dst_sel:DWORD dst_unused:UNUSED_PAD src0_sel:WORD_1 src1_sel:DWORD
	v_fma_f16 v9, v69, v8, v9
	v_cvt_f32_f16_e32 v9, v9
	v_cmp_ne_u32_e32 vcc, 0, v7
	v_cndmask_b32_e64 v7, 0, 1, vcc
	v_lshl_or_b32 v7, v7, 9, v2
	v_cvt_f64_f32_e32 v[9:10], v9
	v_cmp_eq_u32_e32 vcc, s15, v11
	v_cndmask_b32_e32 v7, v13, v7, vcc
	v_lshrrev_b32_e32 v11, 16, v12
	v_mul_f64 v[9:10], v[9:10], s[6:7]
	v_and_or_b32 v7, v11, s16, v7
	v_and_b32_e32 v0, 0xffff, v0
	v_add_co_u32_e32 v5, vcc, s10, v5
	v_lshl_or_b32 v0, v7, 16, v0
	v_addc_co_u32_e32 v6, vcc, v6, v3, vcc
	global_store_dword v[5:6], v0, off
	v_and_or_b32 v0, v10, s17, v9
	v_cmp_ne_u32_e32 vcc, 0, v0
	v_cndmask_b32_e64 v0, 0, 1, vcc
	v_lshrrev_b32_e32 v7, 8, v10
	v_bfe_u32 v9, v10, 20, 11
	v_and_or_b32 v0, v7, s14, v0
	v_sub_u32_e32 v11, 0x3f1, v9
	v_or_b32_e32 v7, 0x1000, v0
	v_med3_i32 v11, v11, 0, 13
	v_lshrrev_b32_e32 v12, v11, v7
	v_lshlrev_b32_e32 v11, v11, v12
	v_mul_f16_sdwa v8, v69, v8 dst_sel:DWORD dst_unused:UNUSED_PAD src0_sel:WORD_1 src1_sel:DWORD
	v_cmp_ne_u32_e32 vcc, v11, v7
	v_fma_f16 v8, v69, v14, -v8
	v_cndmask_b32_e64 v7, 0, 1, vcc
	v_add_u32_e32 v9, 0xfffffc10, v9
	v_cvt_f32_f16_e32 v8, v8
	v_or_b32_e32 v7, v12, v7
	v_lshl_or_b32 v11, v9, 12, v0
	v_cmp_gt_i32_e32 vcc, 1, v9
	v_cndmask_b32_e32 v7, v11, v7, vcc
	v_and_b32_e32 v11, 7, v7
	v_cmp_lt_i32_e32 vcc, 5, v11
	v_cmp_eq_u32_e64 s[2:3], 3, v11
	v_lshrrev_b32_e32 v11, 2, v7
	v_cvt_f64_f32_e32 v[7:8], v8
	s_or_b64 vcc, s[2:3], vcc
	v_addc_co_u32_e32 v11, vcc, 0, v11, vcc
	v_mul_f64 v[7:8], v[7:8], s[6:7]
	v_cmp_gt_i32_e32 vcc, 31, v9
	v_cndmask_b32_e32 v11, v2, v11, vcc
	v_cmp_ne_u32_e32 vcc, 0, v0
	v_cndmask_b32_e64 v0, 0, 1, vcc
	v_lshl_or_b32 v0, v0, 9, v2
	v_cmp_eq_u32_e32 vcc, s15, v9
	v_cndmask_b32_e32 v0, v11, v0, vcc
	v_and_or_b32 v7, v8, s17, v7
	v_lshrrev_b32_e32 v9, 16, v10
	v_cmp_ne_u32_e32 vcc, 0, v7
	v_and_or_b32 v0, v9, s16, v0
	v_cndmask_b32_e64 v7, 0, 1, vcc
	v_lshrrev_b32_e32 v9, 8, v8
	v_bfe_u32 v10, v8, 20, 11
	v_and_or_b32 v7, v9, s14, v7
	v_sub_u32_e32 v11, 0x3f1, v10
	v_or_b32_e32 v9, 0x1000, v7
	v_med3_i32 v11, v11, 0, 13
	v_lshrrev_b32_e32 v12, v11, v9
	v_lshlrev_b32_e32 v11, v11, v12
	v_cmp_ne_u32_e32 vcc, v11, v9
	v_cndmask_b32_e64 v9, 0, 1, vcc
	v_add_u32_e32 v11, 0xfffffc10, v10
	v_or_b32_e32 v9, v12, v9
	v_lshl_or_b32 v10, v11, 12, v7
	v_cmp_gt_i32_e32 vcc, 1, v11
	v_cndmask_b32_e32 v9, v10, v9, vcc
	v_and_b32_e32 v10, 7, v9
	v_cmp_lt_i32_e32 vcc, 5, v10
	v_cmp_eq_u32_e64 s[2:3], 3, v10
	v_lshrrev_b32_e32 v9, 2, v9
	s_or_b64 vcc, s[2:3], vcc
	v_addc_co_u32_e32 v9, vcc, 0, v9, vcc
	v_cmp_gt_i32_e32 vcc, 31, v11
	v_lshrrev_b32_e32 v13, 16, v1
	v_cndmask_b32_e32 v12, v2, v9, vcc
	v_mul_f16_sdwa v9, v68, v13 dst_sel:DWORD dst_unused:UNUSED_PAD src0_sel:WORD_1 src1_sel:DWORD
	v_fma_f16 v9, v68, v1, v9
	v_cvt_f32_f16_e32 v9, v9
	v_cmp_ne_u32_e32 vcc, 0, v7
	v_cndmask_b32_e64 v7, 0, 1, vcc
	v_lshl_or_b32 v7, v7, 9, v2
	v_cvt_f64_f32_e32 v[9:10], v9
	v_cmp_eq_u32_e32 vcc, s15, v11
	v_cndmask_b32_e32 v7, v12, v7, vcc
	v_lshrrev_b32_e32 v8, 16, v8
	v_and_or_b32 v11, v8, s16, v7
	v_mul_f64 v[7:8], v[9:10], s[6:7]
	v_and_b32_e32 v0, 0xffff, v0
	v_add_co_u32_e32 v5, vcc, s4, v5
	v_lshl_or_b32 v0, v11, 16, v0
	v_addc_co_u32_e32 v6, vcc, v6, v4, vcc
	global_store_dword v[5:6], v0, off
	v_and_or_b32 v0, v8, s17, v7
	v_cmp_ne_u32_e32 vcc, 0, v0
	v_cndmask_b32_e64 v0, 0, 1, vcc
	v_lshrrev_b32_e32 v4, 8, v8
	v_bfe_u32 v7, v8, 20, 11
	v_and_or_b32 v4, v4, s14, v0
	v_sub_u32_e32 v9, 0x3f1, v7
	v_or_b32_e32 v0, 0x1000, v4
	v_med3_i32 v9, v9, 0, 13
	v_lshrrev_b32_e32 v10, v9, v0
	v_lshlrev_b32_e32 v9, v9, v10
	v_mul_f16_sdwa v1, v68, v1 dst_sel:DWORD dst_unused:UNUSED_PAD src0_sel:WORD_1 src1_sel:DWORD
	v_cmp_ne_u32_e32 vcc, v9, v0
	v_fma_f16 v1, v68, v13, -v1
	v_cndmask_b32_e64 v0, 0, 1, vcc
	v_add_u32_e32 v7, 0xfffffc10, v7
	v_cvt_f32_f16_e32 v1, v1
	v_or_b32_e32 v0, v10, v0
	v_lshl_or_b32 v9, v7, 12, v4
	v_cmp_gt_i32_e32 vcc, 1, v7
	v_cndmask_b32_e32 v0, v9, v0, vcc
	v_and_b32_e32 v9, 7, v0
	v_cmp_lt_i32_e32 vcc, 5, v9
	v_cmp_eq_u32_e64 s[2:3], 3, v9
	v_lshrrev_b32_e32 v9, 2, v0
	v_cvt_f64_f32_e32 v[0:1], v1
	s_or_b64 vcc, s[2:3], vcc
	v_addc_co_u32_e32 v9, vcc, 0, v9, vcc
	v_mul_f64 v[0:1], v[0:1], s[6:7]
	v_cmp_gt_i32_e32 vcc, 31, v7
	v_cndmask_b32_e32 v9, v2, v9, vcc
	v_cmp_ne_u32_e32 vcc, 0, v4
	v_cndmask_b32_e64 v4, 0, 1, vcc
	v_lshl_or_b32 v4, v4, 9, v2
	v_cmp_eq_u32_e32 vcc, s15, v7
	v_cndmask_b32_e32 v4, v9, v4, vcc
	v_and_or_b32 v0, v1, s17, v0
	v_lshrrev_b32_e32 v7, 16, v8
	v_cmp_ne_u32_e32 vcc, 0, v0
	v_and_or_b32 v4, v7, s16, v4
	v_cndmask_b32_e64 v0, 0, 1, vcc
	v_lshrrev_b32_e32 v7, 8, v1
	v_bfe_u32 v8, v1, 20, 11
	v_and_or_b32 v0, v7, s14, v0
	v_sub_u32_e32 v9, 0x3f1, v8
	v_or_b32_e32 v7, 0x1000, v0
	v_med3_i32 v9, v9, 0, 13
	v_lshrrev_b32_e32 v10, v9, v7
	v_lshlrev_b32_e32 v9, v9, v10
	v_cmp_ne_u32_e32 vcc, v9, v7
	v_cndmask_b32_e64 v7, 0, 1, vcc
	v_add_u32_e32 v8, 0xfffffc10, v8
	v_or_b32_e32 v7, v10, v7
	v_lshl_or_b32 v9, v8, 12, v0
	v_cmp_gt_i32_e32 vcc, 1, v8
	v_cndmask_b32_e32 v7, v9, v7, vcc
	v_and_b32_e32 v9, 7, v7
	v_cmp_lt_i32_e32 vcc, 5, v9
	v_cmp_eq_u32_e64 s[2:3], 3, v9
	v_lshrrev_b32_e32 v7, 2, v7
	s_or_b64 vcc, s[2:3], vcc
	v_addc_co_u32_e32 v7, vcc, 0, v7, vcc
	v_cmp_gt_i32_e32 vcc, 31, v8
	v_cndmask_b32_e32 v7, v2, v7, vcc
	v_cmp_ne_u32_e32 vcc, 0, v0
	v_cndmask_b32_e64 v0, 0, 1, vcc
	v_lshl_or_b32 v0, v0, 9, v2
	v_cmp_eq_u32_e32 vcc, s15, v8
	v_cndmask_b32_e32 v0, v7, v0, vcc
	v_lshrrev_b32_e32 v1, 16, v1
	v_and_or_b32 v0, v1, s16, v0
	v_and_b32_e32 v1, 0xffff, v4
	v_lshl_or_b32 v4, v0, 16, v1
	v_add_co_u32_e32 v0, vcc, s10, v5
	v_addc_co_u32_e32 v1, vcc, v6, v3, vcc
	global_store_dword v[0:1], v4, off
	s_and_b64 exec, exec, s[0:1]
	s_cbranch_execz .LBB0_31
; %bb.30:
	global_load_dword v3, v[20:21], off offset:2080
	ds_read_b32 v4, v67 offset:2080
	ds_read_b32 v9, v67 offset:4264
	v_add_co_u32_e32 v7, vcc, s18, v20
	v_addc_co_u32_e32 v8, vcc, 0, v21, vcc
	s_waitcnt lgkmcnt(1)
	v_lshrrev_b32_e32 v5, 16, v4
	v_mov_b32_e32 v10, s5
	v_add_co_u32_e32 v0, vcc, s4, v0
	v_addc_co_u32_e32 v1, vcc, v1, v10, vcc
	s_waitcnt vmcnt(0)
	v_mul_f16_sdwa v6, v5, v3 dst_sel:DWORD dst_unused:UNUSED_PAD src0_sel:DWORD src1_sel:WORD_1
	v_fma_f16 v6, v4, v3, v6
	v_mul_f16_sdwa v4, v4, v3 dst_sel:DWORD dst_unused:UNUSED_PAD src0_sel:DWORD src1_sel:WORD_1
	v_cvt_f32_f16_e32 v6, v6
	v_fma_f16 v3, v3, v5, -v4
	v_cvt_f32_f16_e32 v5, v3
	v_cvt_f64_f32_e32 v[3:4], v6
	v_cvt_f64_f32_e32 v[5:6], v5
	v_mul_f64 v[3:4], v[3:4], s[6:7]
	v_mul_f64 v[5:6], v[5:6], s[6:7]
	v_and_or_b32 v3, v4, s17, v3
	v_cmp_ne_u32_e32 vcc, 0, v3
	v_and_or_b32 v5, v6, s17, v5
	v_lshrrev_b32_e32 v10, 8, v4
	v_bfe_u32 v11, v4, 20, 11
	v_cndmask_b32_e64 v3, 0, 1, vcc
	v_cmp_ne_u32_e32 vcc, 0, v5
	v_lshrrev_b32_e32 v12, 8, v6
	v_bfe_u32 v13, v6, 20, 11
	v_sub_u32_e32 v14, 0x3f1, v11
	v_cndmask_b32_e64 v5, 0, 1, vcc
	v_and_or_b32 v3, v10, s14, v3
	v_sub_u32_e32 v15, 0x3f1, v13
	v_med3_i32 v10, v14, 0, 13
	v_and_or_b32 v5, v12, s14, v5
	v_or_b32_e32 v14, 0x1000, v3
	v_add_u32_e32 v11, 0xfffffc10, v11
	v_med3_i32 v12, v15, 0, 13
	v_cmp_ne_u32_e32 vcc, 0, v3
	v_or_b32_e32 v16, 0x1000, v5
	v_lshrrev_b32_e32 v18, v10, v14
	v_add_u32_e32 v13, 0xfffffc10, v13
	v_lshl_or_b32 v15, v11, 12, v3
	v_cndmask_b32_e64 v3, 0, 1, vcc
	v_cmp_ne_u32_e32 vcc, 0, v5
	v_lshrrev_b32_e32 v19, v12, v16
	v_lshlrev_b32_e32 v10, v10, v18
	v_lshl_or_b32 v17, v13, 12, v5
	v_cndmask_b32_e64 v5, 0, 1, vcc
	v_lshlrev_b32_e32 v12, v12, v19
	v_cmp_ne_u32_e32 vcc, v10, v14
	v_cndmask_b32_e64 v10, 0, 1, vcc
	v_cmp_ne_u32_e32 vcc, v12, v16
	v_cndmask_b32_e64 v12, 0, 1, vcc
	v_or_b32_e32 v10, v18, v10
	v_cmp_gt_i32_e32 vcc, 1, v11
	v_cndmask_b32_e32 v10, v15, v10, vcc
	v_or_b32_e32 v12, v19, v12
	v_cmp_gt_i32_e32 vcc, 1, v13
	v_and_b32_e32 v14, 7, v10
	v_cndmask_b32_e32 v12, v17, v12, vcc
	v_cmp_lt_i32_e32 vcc, 5, v14
	v_cmp_eq_u32_e64 s[0:1], 3, v14
	v_lshrrev_b32_e32 v10, 2, v10
	v_and_b32_e32 v15, 7, v12
	s_or_b64 vcc, s[0:1], vcc
	v_cmp_lt_i32_e64 s[2:3], 5, v15
	v_cmp_eq_u32_e64 s[4:5], 3, v15
	v_addc_co_u32_e32 v10, vcc, 0, v10, vcc
	v_lshrrev_b32_e32 v12, 2, v12
	s_or_b64 vcc, s[4:5], s[2:3]
	v_addc_co_u32_e32 v12, vcc, 0, v12, vcc
	v_cmp_gt_i32_e32 vcc, 31, v11
	v_cndmask_b32_e32 v10, v2, v10, vcc
	v_cmp_gt_i32_e32 vcc, 31, v13
	v_lshl_or_b32 v3, v3, 9, v2
	v_cndmask_b32_e32 v12, v2, v12, vcc
	v_cmp_eq_u32_e32 vcc, s15, v11
	v_lshrrev_b32_e32 v4, 16, v4
	v_lshl_or_b32 v5, v5, 9, v2
	v_cndmask_b32_e32 v3, v10, v3, vcc
	v_cmp_eq_u32_e32 vcc, s15, v13
	v_lshrrev_b32_e32 v6, 16, v6
	v_cndmask_b32_e32 v5, v12, v5, vcc
	v_and_or_b32 v3, v4, s16, v3
	v_and_or_b32 v4, v6, s16, v5
	v_and_b32_e32 v3, 0xffff, v3
	v_lshl_or_b32 v3, v4, 16, v3
	global_store_dword v[0:1], v3, off
	global_load_dword v3, v[7:8], off offset:168
	s_waitcnt lgkmcnt(0)
	v_lshrrev_b32_e32 v4, 16, v9
	v_mov_b32_e32 v7, s11
	s_waitcnt vmcnt(0)
	v_mul_f16_sdwa v5, v4, v3 dst_sel:DWORD dst_unused:UNUSED_PAD src0_sel:DWORD src1_sel:WORD_1
	v_fma_f16 v5, v9, v3, v5
	v_mul_f16_sdwa v6, v9, v3 dst_sel:DWORD dst_unused:UNUSED_PAD src0_sel:DWORD src1_sel:WORD_1
	v_cvt_f32_f16_e32 v5, v5
	v_fma_f16 v3, v3, v4, -v6
	v_cvt_f32_f16_e32 v6, v3
	v_cvt_f64_f32_e32 v[3:4], v5
	v_cvt_f64_f32_e32 v[5:6], v6
	v_mul_f64 v[3:4], v[3:4], s[6:7]
	v_mul_f64 v[5:6], v[5:6], s[6:7]
	v_and_or_b32 v3, v4, s17, v3
	v_cmp_ne_u32_e32 vcc, 0, v3
	v_and_or_b32 v5, v6, s17, v5
	v_lshrrev_b32_e32 v8, 8, v4
	v_bfe_u32 v9, v4, 20, 11
	v_cndmask_b32_e64 v3, 0, 1, vcc
	v_cmp_ne_u32_e32 vcc, 0, v5
	v_lshrrev_b32_e32 v10, 8, v6
	v_bfe_u32 v11, v6, 20, 11
	v_sub_u32_e32 v12, 0x3f1, v9
	v_cndmask_b32_e64 v5, 0, 1, vcc
	v_and_or_b32 v3, v8, s14, v3
	v_sub_u32_e32 v13, 0x3f1, v11
	v_med3_i32 v8, v12, 0, 13
	v_and_or_b32 v5, v10, s14, v5
	v_or_b32_e32 v12, 0x1000, v3
	v_add_u32_e32 v9, 0xfffffc10, v9
	v_med3_i32 v10, v13, 0, 13
	v_cmp_ne_u32_e32 vcc, 0, v3
	v_or_b32_e32 v14, 0x1000, v5
	v_lshrrev_b32_e32 v16, v8, v12
	v_add_u32_e32 v11, 0xfffffc10, v11
	v_lshl_or_b32 v13, v9, 12, v3
	v_cndmask_b32_e64 v3, 0, 1, vcc
	v_cmp_ne_u32_e32 vcc, 0, v5
	v_lshrrev_b32_e32 v17, v10, v14
	v_lshlrev_b32_e32 v8, v8, v16
	v_lshl_or_b32 v15, v11, 12, v5
	v_cndmask_b32_e64 v5, 0, 1, vcc
	v_lshlrev_b32_e32 v10, v10, v17
	v_cmp_ne_u32_e32 vcc, v8, v12
	v_cndmask_b32_e64 v8, 0, 1, vcc
	v_cmp_ne_u32_e32 vcc, v10, v14
	v_cndmask_b32_e64 v10, 0, 1, vcc
	v_or_b32_e32 v8, v16, v8
	v_cmp_gt_i32_e32 vcc, 1, v9
	v_cndmask_b32_e32 v8, v13, v8, vcc
	v_or_b32_e32 v10, v17, v10
	v_cmp_gt_i32_e32 vcc, 1, v11
	v_and_b32_e32 v12, 7, v8
	v_cndmask_b32_e32 v10, v15, v10, vcc
	v_cmp_lt_i32_e32 vcc, 5, v12
	v_cmp_eq_u32_e64 s[0:1], 3, v12
	v_lshrrev_b32_e32 v8, 2, v8
	v_and_b32_e32 v13, 7, v10
	s_or_b64 vcc, s[0:1], vcc
	v_cmp_lt_i32_e64 s[2:3], 5, v13
	v_cmp_eq_u32_e64 s[4:5], 3, v13
	v_addc_co_u32_e32 v8, vcc, 0, v8, vcc
	v_lshrrev_b32_e32 v10, 2, v10
	s_or_b64 vcc, s[4:5], s[2:3]
	v_addc_co_u32_e32 v10, vcc, 0, v10, vcc
	v_cmp_gt_i32_e32 vcc, 31, v9
	v_cndmask_b32_e32 v8, v2, v8, vcc
	v_cmp_gt_i32_e32 vcc, 31, v11
	v_lshl_or_b32 v3, v3, 9, v2
	v_lshl_or_b32 v5, v5, 9, v2
	v_cndmask_b32_e32 v2, v2, v10, vcc
	v_cmp_eq_u32_e32 vcc, s15, v9
	v_lshrrev_b32_e32 v4, 16, v4
	v_cndmask_b32_e32 v3, v8, v3, vcc
	v_cmp_eq_u32_e32 vcc, s15, v11
	v_lshrrev_b32_e32 v6, 16, v6
	v_cndmask_b32_e32 v2, v2, v5, vcc
	v_and_or_b32 v3, v4, s16, v3
	v_and_or_b32 v2, v6, s16, v2
	v_and_b32_e32 v3, 0xffff, v3
	v_add_co_u32_e32 v0, vcc, s10, v0
	v_lshl_or_b32 v2, v2, 16, v3
	v_addc_co_u32_e32 v1, vcc, v1, v7, vcc
	global_store_dword v[0:1], v2, off
.LBB0_31:
	s_endpgm
	.section	.rodata,"a",@progbits
	.p2align	6, 0x0
	.amdhsa_kernel bluestein_single_back_len1092_dim1_half_op_CI_CI
		.amdhsa_group_segment_fixed_size 4368
		.amdhsa_private_segment_fixed_size 0
		.amdhsa_kernarg_size 104
		.amdhsa_user_sgpr_count 6
		.amdhsa_user_sgpr_private_segment_buffer 1
		.amdhsa_user_sgpr_dispatch_ptr 0
		.amdhsa_user_sgpr_queue_ptr 0
		.amdhsa_user_sgpr_kernarg_segment_ptr 1
		.amdhsa_user_sgpr_dispatch_id 0
		.amdhsa_user_sgpr_flat_scratch_init 0
		.amdhsa_user_sgpr_private_segment_size 0
		.amdhsa_uses_dynamic_stack 0
		.amdhsa_system_sgpr_private_segment_wavefront_offset 0
		.amdhsa_system_sgpr_workgroup_id_x 1
		.amdhsa_system_sgpr_workgroup_id_y 0
		.amdhsa_system_sgpr_workgroup_id_z 0
		.amdhsa_system_sgpr_workgroup_info 0
		.amdhsa_system_vgpr_workitem_id 0
		.amdhsa_next_free_vgpr 251
		.amdhsa_next_free_sgpr 36
		.amdhsa_reserve_vcc 1
		.amdhsa_reserve_flat_scratch 0
		.amdhsa_float_round_mode_32 0
		.amdhsa_float_round_mode_16_64 0
		.amdhsa_float_denorm_mode_32 3
		.amdhsa_float_denorm_mode_16_64 3
		.amdhsa_dx10_clamp 1
		.amdhsa_ieee_mode 1
		.amdhsa_fp16_overflow 0
		.amdhsa_exception_fp_ieee_invalid_op 0
		.amdhsa_exception_fp_denorm_src 0
		.amdhsa_exception_fp_ieee_div_zero 0
		.amdhsa_exception_fp_ieee_overflow 0
		.amdhsa_exception_fp_ieee_underflow 0
		.amdhsa_exception_fp_ieee_inexact 0
		.amdhsa_exception_int_div_zero 0
	.end_amdhsa_kernel
	.text
.Lfunc_end0:
	.size	bluestein_single_back_len1092_dim1_half_op_CI_CI, .Lfunc_end0-bluestein_single_back_len1092_dim1_half_op_CI_CI
                                        ; -- End function
	.section	.AMDGPU.csdata,"",@progbits
; Kernel info:
; codeLenInByte = 39676
; NumSgprs: 40
; NumVgprs: 251
; ScratchSize: 0
; MemoryBound: 0
; FloatMode: 240
; IeeeMode: 1
; LDSByteSize: 4368 bytes/workgroup (compile time only)
; SGPRBlocks: 4
; VGPRBlocks: 62
; NumSGPRsForWavesPerEU: 40
; NumVGPRsForWavesPerEU: 251
; Occupancy: 1
; WaveLimiterHint : 1
; COMPUTE_PGM_RSRC2:SCRATCH_EN: 0
; COMPUTE_PGM_RSRC2:USER_SGPR: 6
; COMPUTE_PGM_RSRC2:TRAP_HANDLER: 0
; COMPUTE_PGM_RSRC2:TGID_X_EN: 1
; COMPUTE_PGM_RSRC2:TGID_Y_EN: 0
; COMPUTE_PGM_RSRC2:TGID_Z_EN: 0
; COMPUTE_PGM_RSRC2:TIDIG_COMP_CNT: 0
	.type	__hip_cuid_b4a55cbdf4ad847b,@object ; @__hip_cuid_b4a55cbdf4ad847b
	.section	.bss,"aw",@nobits
	.globl	__hip_cuid_b4a55cbdf4ad847b
__hip_cuid_b4a55cbdf4ad847b:
	.byte	0                               ; 0x0
	.size	__hip_cuid_b4a55cbdf4ad847b, 1

	.ident	"AMD clang version 19.0.0git (https://github.com/RadeonOpenCompute/llvm-project roc-6.4.0 25133 c7fe45cf4b819c5991fe208aaa96edf142730f1d)"
	.section	".note.GNU-stack","",@progbits
	.addrsig
	.addrsig_sym __hip_cuid_b4a55cbdf4ad847b
	.amdgpu_metadata
---
amdhsa.kernels:
  - .args:
      - .actual_access:  read_only
        .address_space:  global
        .offset:         0
        .size:           8
        .value_kind:     global_buffer
      - .actual_access:  read_only
        .address_space:  global
        .offset:         8
        .size:           8
        .value_kind:     global_buffer
      - .actual_access:  read_only
        .address_space:  global
        .offset:         16
        .size:           8
        .value_kind:     global_buffer
      - .actual_access:  read_only
        .address_space:  global
        .offset:         24
        .size:           8
        .value_kind:     global_buffer
      - .actual_access:  read_only
        .address_space:  global
        .offset:         32
        .size:           8
        .value_kind:     global_buffer
      - .offset:         40
        .size:           8
        .value_kind:     by_value
      - .address_space:  global
        .offset:         48
        .size:           8
        .value_kind:     global_buffer
      - .address_space:  global
        .offset:         56
        .size:           8
        .value_kind:     global_buffer
      - .address_space:  global
        .offset:         64
        .size:           8
        .value_kind:     global_buffer
      - .address_space:  global
        .offset:         72
        .size:           8
        .value_kind:     global_buffer
      - .offset:         80
        .size:           4
        .value_kind:     by_value
      - .address_space:  global
        .offset:         88
        .size:           8
        .value_kind:     global_buffer
      - .address_space:  global
        .offset:         96
        .size:           8
        .value_kind:     global_buffer
    .group_segment_fixed_size: 4368
    .kernarg_segment_align: 8
    .kernarg_segment_size: 104
    .language:       OpenCL C
    .language_version:
      - 2
      - 0
    .max_flat_workgroup_size: 52
    .name:           bluestein_single_back_len1092_dim1_half_op_CI_CI
    .private_segment_fixed_size: 0
    .sgpr_count:     40
    .sgpr_spill_count: 0
    .symbol:         bluestein_single_back_len1092_dim1_half_op_CI_CI.kd
    .uniform_work_group_size: 1
    .uses_dynamic_stack: false
    .vgpr_count:     251
    .vgpr_spill_count: 0
    .wavefront_size: 64
amdhsa.target:   amdgcn-amd-amdhsa--gfx906
amdhsa.version:
  - 1
  - 2
...

	.end_amdgpu_metadata
